;; amdgpu-corpus repo=ROCm/rocFFT kind=compiled arch=gfx950 opt=O3
	.text
	.amdgcn_target "amdgcn-amd-amdhsa--gfx950"
	.amdhsa_code_object_version 6
	.protected	fft_rtc_back_len2023_factors_17_7_17_wgs_119_tpt_119_halfLds_sp_ip_CI_unitstride_sbrr_dirReg ; -- Begin function fft_rtc_back_len2023_factors_17_7_17_wgs_119_tpt_119_halfLds_sp_ip_CI_unitstride_sbrr_dirReg
	.globl	fft_rtc_back_len2023_factors_17_7_17_wgs_119_tpt_119_halfLds_sp_ip_CI_unitstride_sbrr_dirReg
	.p2align	8
	.type	fft_rtc_back_len2023_factors_17_7_17_wgs_119_tpt_119_halfLds_sp_ip_CI_unitstride_sbrr_dirReg,@function
fft_rtc_back_len2023_factors_17_7_17_wgs_119_tpt_119_halfLds_sp_ip_CI_unitstride_sbrr_dirReg: ; @fft_rtc_back_len2023_factors_17_7_17_wgs_119_tpt_119_halfLds_sp_ip_CI_unitstride_sbrr_dirReg
; %bb.0:
	s_load_dwordx2 s[8:9], s[0:1], 0x50
	s_load_dwordx4 s[4:7], s[0:1], 0x0
	s_load_dwordx2 s[10:11], s[0:1], 0x18
	v_mul_u32_u24_e32 v1, 0x227, v0
	v_add_u32_sdwa v6, s2, v1 dst_sel:DWORD dst_unused:UNUSED_PAD src0_sel:DWORD src1_sel:WORD_1
	v_mov_b32_e32 v4, 0
	s_waitcnt lgkmcnt(0)
	v_cmp_lt_u64_e64 s[2:3], s[6:7], 2
	v_mov_b32_e32 v7, v4
	s_and_b64 vcc, exec, s[2:3]
	v_mov_b64_e32 v[2:3], 0
	s_cbranch_vccnz .LBB0_8
; %bb.1:
	s_load_dwordx2 s[2:3], s[0:1], 0x10
	s_add_u32 s12, s10, 8
	s_addc_u32 s13, s11, 0
	s_mov_b64 s[14:15], 1
	v_mov_b64_e32 v[2:3], 0
	s_waitcnt lgkmcnt(0)
	s_add_u32 s16, s2, 8
	s_addc_u32 s17, s3, 0
.LBB0_2:                                ; =>This Inner Loop Header: Depth=1
	s_load_dwordx2 s[18:19], s[16:17], 0x0
                                        ; implicit-def: $vgpr8_vgpr9
	s_waitcnt lgkmcnt(0)
	v_or_b32_e32 v5, s19, v7
	v_cmp_ne_u64_e32 vcc, 0, v[4:5]
	s_and_saveexec_b64 s[2:3], vcc
	s_xor_b64 s[20:21], exec, s[2:3]
	s_cbranch_execz .LBB0_4
; %bb.3:                                ;   in Loop: Header=BB0_2 Depth=1
	v_cvt_f32_u32_e32 v1, s18
	v_cvt_f32_u32_e32 v5, s19
	s_sub_u32 s2, 0, s18
	s_subb_u32 s3, 0, s19
	v_fmac_f32_e32 v1, 0x4f800000, v5
	v_rcp_f32_e32 v1, v1
	s_nop 0
	v_mul_f32_e32 v1, 0x5f7ffffc, v1
	v_mul_f32_e32 v5, 0x2f800000, v1
	v_trunc_f32_e32 v5, v5
	v_fmac_f32_e32 v1, 0xcf800000, v5
	v_cvt_u32_f32_e32 v5, v5
	v_cvt_u32_f32_e32 v1, v1
	v_mul_lo_u32 v8, s2, v5
	v_mul_hi_u32 v10, s2, v1
	v_mul_lo_u32 v9, s3, v1
	v_add_u32_e32 v10, v10, v8
	v_mul_lo_u32 v12, s2, v1
	v_add_u32_e32 v13, v10, v9
	v_mul_hi_u32 v8, v1, v12
	v_mul_hi_u32 v11, v1, v13
	v_mul_lo_u32 v10, v1, v13
	v_mov_b32_e32 v9, v4
	v_lshl_add_u64 v[8:9], v[8:9], 0, v[10:11]
	v_mul_hi_u32 v11, v5, v12
	v_mul_lo_u32 v12, v5, v12
	v_add_co_u32_e32 v8, vcc, v8, v12
	v_mul_hi_u32 v10, v5, v13
	s_nop 0
	v_addc_co_u32_e32 v8, vcc, v9, v11, vcc
	v_mov_b32_e32 v9, v4
	s_nop 0
	v_addc_co_u32_e32 v11, vcc, 0, v10, vcc
	v_mul_lo_u32 v10, v5, v13
	v_lshl_add_u64 v[8:9], v[8:9], 0, v[10:11]
	v_add_co_u32_e32 v1, vcc, v1, v8
	v_mul_lo_u32 v10, s2, v1
	s_nop 0
	v_addc_co_u32_e32 v5, vcc, v5, v9, vcc
	v_mul_lo_u32 v8, s2, v5
	v_mul_hi_u32 v9, s2, v1
	v_add_u32_e32 v8, v9, v8
	v_mul_lo_u32 v9, s3, v1
	v_add_u32_e32 v12, v8, v9
	v_mul_hi_u32 v14, v5, v10
	v_mul_lo_u32 v15, v5, v10
	v_mul_hi_u32 v9, v1, v12
	v_mul_lo_u32 v8, v1, v12
	v_mul_hi_u32 v10, v1, v10
	v_mov_b32_e32 v11, v4
	v_lshl_add_u64 v[8:9], v[10:11], 0, v[8:9]
	v_add_co_u32_e32 v8, vcc, v8, v15
	v_mul_hi_u32 v13, v5, v12
	s_nop 0
	v_addc_co_u32_e32 v8, vcc, v9, v14, vcc
	v_mul_lo_u32 v10, v5, v12
	s_nop 0
	v_addc_co_u32_e32 v11, vcc, 0, v13, vcc
	v_mov_b32_e32 v9, v4
	v_lshl_add_u64 v[8:9], v[8:9], 0, v[10:11]
	v_add_co_u32_e32 v1, vcc, v1, v8
	v_mul_hi_u32 v10, v6, v1
	s_nop 0
	v_addc_co_u32_e32 v5, vcc, v5, v9, vcc
	v_mad_u64_u32 v[8:9], s[2:3], v6, v5, 0
	v_mov_b32_e32 v11, v4
	v_lshl_add_u64 v[8:9], v[10:11], 0, v[8:9]
	v_mad_u64_u32 v[12:13], s[2:3], v7, v1, 0
	v_add_co_u32_e32 v1, vcc, v8, v12
	v_mad_u64_u32 v[10:11], s[2:3], v7, v5, 0
	s_nop 0
	v_addc_co_u32_e32 v8, vcc, v9, v13, vcc
	v_mov_b32_e32 v9, v4
	s_nop 0
	v_addc_co_u32_e32 v11, vcc, 0, v11, vcc
	v_lshl_add_u64 v[8:9], v[8:9], 0, v[10:11]
	v_mul_lo_u32 v1, s19, v8
	v_mul_lo_u32 v5, s18, v9
	v_mad_u64_u32 v[10:11], s[2:3], s18, v8, 0
	v_add3_u32 v1, v11, v5, v1
	v_sub_u32_e32 v5, v7, v1
	v_mov_b32_e32 v11, s19
	v_sub_co_u32_e32 v14, vcc, v6, v10
	v_lshl_add_u64 v[12:13], v[8:9], 0, 1
	s_nop 0
	v_subb_co_u32_e64 v5, s[2:3], v5, v11, vcc
	v_subrev_co_u32_e64 v10, s[2:3], s18, v14
	v_subb_co_u32_e32 v1, vcc, v7, v1, vcc
	s_nop 0
	v_subbrev_co_u32_e64 v5, s[2:3], 0, v5, s[2:3]
	v_cmp_le_u32_e64 s[2:3], s19, v5
	v_cmp_le_u32_e32 vcc, s19, v1
	s_nop 0
	v_cndmask_b32_e64 v11, 0, -1, s[2:3]
	v_cmp_le_u32_e64 s[2:3], s18, v10
	s_nop 1
	v_cndmask_b32_e64 v10, 0, -1, s[2:3]
	v_cmp_eq_u32_e64 s[2:3], s19, v5
	s_nop 1
	v_cndmask_b32_e64 v5, v11, v10, s[2:3]
	v_lshl_add_u64 v[10:11], v[8:9], 0, 2
	v_cmp_ne_u32_e64 s[2:3], 0, v5
	s_nop 1
	v_cndmask_b32_e64 v5, v13, v11, s[2:3]
	v_cndmask_b32_e64 v11, 0, -1, vcc
	v_cmp_le_u32_e32 vcc, s18, v14
	s_nop 1
	v_cndmask_b32_e64 v13, 0, -1, vcc
	v_cmp_eq_u32_e32 vcc, s19, v1
	s_nop 1
	v_cndmask_b32_e32 v1, v11, v13, vcc
	v_cmp_ne_u32_e32 vcc, 0, v1
	v_cndmask_b32_e64 v1, v12, v10, s[2:3]
	s_nop 0
	v_cndmask_b32_e32 v9, v9, v5, vcc
	v_cndmask_b32_e32 v8, v8, v1, vcc
.LBB0_4:                                ;   in Loop: Header=BB0_2 Depth=1
	s_andn2_saveexec_b64 s[2:3], s[20:21]
	s_cbranch_execz .LBB0_6
; %bb.5:                                ;   in Loop: Header=BB0_2 Depth=1
	v_cvt_f32_u32_e32 v1, s18
	s_sub_i32 s20, 0, s18
	v_rcp_iflag_f32_e32 v1, v1
	s_nop 0
	v_mul_f32_e32 v1, 0x4f7ffffe, v1
	v_cvt_u32_f32_e32 v1, v1
	v_mul_lo_u32 v5, s20, v1
	v_mul_hi_u32 v5, v1, v5
	v_add_u32_e32 v1, v1, v5
	v_mul_hi_u32 v1, v6, v1
	v_mul_lo_u32 v5, v1, s18
	v_sub_u32_e32 v5, v6, v5
	v_add_u32_e32 v8, 1, v1
	v_subrev_u32_e32 v9, s18, v5
	v_cmp_le_u32_e32 vcc, s18, v5
	s_nop 1
	v_cndmask_b32_e32 v5, v5, v9, vcc
	v_cndmask_b32_e32 v1, v1, v8, vcc
	v_add_u32_e32 v8, 1, v1
	v_cmp_le_u32_e32 vcc, s18, v5
	v_mov_b32_e32 v9, v4
	s_nop 0
	v_cndmask_b32_e32 v8, v1, v8, vcc
.LBB0_6:                                ;   in Loop: Header=BB0_2 Depth=1
	s_or_b64 exec, exec, s[2:3]
	v_mad_u64_u32 v[10:11], s[2:3], v8, s18, 0
	s_load_dwordx2 s[2:3], s[12:13], 0x0
	v_mul_lo_u32 v1, v9, s18
	v_mul_lo_u32 v5, v8, s19
	v_add3_u32 v1, v11, v5, v1
	v_sub_co_u32_e32 v5, vcc, v6, v10
	s_add_u32 s14, s14, 1
	s_nop 0
	v_subb_co_u32_e32 v1, vcc, v7, v1, vcc
	s_addc_u32 s15, s15, 0
	s_waitcnt lgkmcnt(0)
	v_mul_lo_u32 v1, s2, v1
	v_mul_lo_u32 v6, s3, v5
	v_mad_u64_u32 v[2:3], s[2:3], s2, v5, v[2:3]
	s_add_u32 s12, s12, 8
	v_add3_u32 v3, v6, v3, v1
	s_addc_u32 s13, s13, 0
	v_mov_b64_e32 v[6:7], s[6:7]
	s_add_u32 s16, s16, 8
	v_cmp_ge_u64_e32 vcc, s[14:15], v[6:7]
	s_addc_u32 s17, s17, 0
	s_cbranch_vccnz .LBB0_9
; %bb.7:                                ;   in Loop: Header=BB0_2 Depth=1
	v_mov_b64_e32 v[6:7], v[8:9]
	s_branch .LBB0_2
.LBB0_8:
	v_mov_b64_e32 v[8:9], v[6:7]
.LBB0_9:
	s_lshl_b64 s[2:3], s[6:7], 3
	s_add_u32 s2, s10, s2
	s_addc_u32 s3, s11, s3
	s_load_dwordx2 s[6:7], s[2:3], 0x0
	s_load_dwordx2 s[10:11], s[0:1], 0x20
	s_mov_b32 s2, 0x226b903
                                        ; implicit-def: $vgpr20
                                        ; implicit-def: $vgpr24
                                        ; implicit-def: $vgpr10
                                        ; implicit-def: $vgpr28
                                        ; implicit-def: $vgpr30
                                        ; implicit-def: $vgpr22
                                        ; implicit-def: $vgpr14
                                        ; implicit-def: $vgpr32
                                        ; implicit-def: $vgpr34
                                        ; implicit-def: $vgpr26
                                        ; implicit-def: $vgpr18
                                        ; implicit-def: $vgpr36
                                        ; implicit-def: $vgpr38
                                        ; implicit-def: $vgpr12
                                        ; implicit-def: $vgpr16
	s_waitcnt lgkmcnt(0)
	v_mul_lo_u32 v1, s6, v9
	v_mul_lo_u32 v4, s7, v8
	v_mad_u64_u32 v[6:7], s[0:1], s6, v8, v[2:3]
	v_add3_u32 v7, v4, v7, v1
	v_mul_hi_u32 v1, v0, s2
	v_mul_u32_u24_e32 v1, 0x77, v1
	v_mov_b64_e32 v[4:5], 0
	v_cmp_gt_u64_e64 s[0:1], s[10:11], v[8:9]
	v_sub_u32_e32 v2, v0, v1
	v_lshl_add_u64 v[0:1], v[6:7], 3, s[8:9]
	v_mov_b64_e32 v[6:7], v[4:5]
                                        ; implicit-def: $vgpr8
	s_and_saveexec_b64 s[2:3], s[0:1]
	s_cbranch_execz .LBB0_11
; %bb.10:
	v_mov_b32_e32 v3, 0
	v_lshl_add_u64 v[4:5], v[2:3], 3, v[0:1]
	s_movk_i32 s6, 0x1000
	v_add_co_u32_e32 v6, vcc, s6, v4
	s_movk_i32 s6, 0x2000
	s_nop 0
	v_addc_co_u32_e32 v7, vcc, 0, v5, vcc
	v_add_co_u32_e32 v16, vcc, s6, v4
	global_load_dwordx2 v[12:13], v[4:5], off offset:952
	global_load_dwordx2 v[20:21], v[4:5], off offset:1904
	;; [unrolled: 1-line block ×4, first 2 shown]
	v_addc_co_u32_e32 v17, vcc, 0, v5, vcc
	v_add_co_u32_e32 v32, vcc, 0x3000, v4
	global_load_dwordx2 v[8:9], v[6:7], off offset:2568
	global_load_dwordx2 v[28:29], v[6:7], off offset:3520
	;; [unrolled: 1-line block ×8, first 2 shown]
	v_addc_co_u32_e32 v33, vcc, 0, v5, vcc
	global_load_dwordx2 v[40:41], v[32:33], off offset:88
	global_load_dwordx2 v[18:19], v[32:33], off offset:1040
	;; [unrolled: 1-line block ×4, first 2 shown]
	global_load_dwordx2 v[6:7], v[4:5], off
	v_mov_b64_e32 v[4:5], v[2:3]
	s_waitcnt vmcnt(16)
	v_mov_b32_e32 v37, v12
	s_waitcnt vmcnt(15)
	v_mov_b32_e32 v36, v20
	;; [unrolled: 2-line block ×4, first 2 shown]
	v_mov_b32_e32 v26, v25
	v_mov_b32_e32 v12, v21
	s_waitcnt vmcnt(11)
	v_mov_b32_e32 v20, v28
	s_waitcnt vmcnt(10)
	v_mov_b32_e32 v24, v30
	v_mov_b32_e32 v21, v8
	s_waitcnt vmcnt(9)
	v_mov_b32_e32 v25, v10
	v_mov_b32_e32 v8, v29
	;; [unrolled: 1-line block ×3, first 2 shown]
	s_waitcnt vmcnt(8)
	v_mov_b32_e32 v28, v34
	s_waitcnt vmcnt(7)
	v_mov_b32_e32 v29, v22
	;; [unrolled: 2-line block ×3, first 2 shown]
	v_mov_b32_e32 v31, v14
	v_mov_b32_e32 v22, v35
	;; [unrolled: 1-line block ×3, first 2 shown]
	s_waitcnt vmcnt(4)
	v_mov_b32_e32 v34, v40
	s_waitcnt vmcnt(3)
	v_mov_b32_e32 v35, v18
	v_mov_b32_e32 v18, v41
	s_waitcnt vmcnt(2)
	v_mov_b32_e32 v38, v42
	s_waitcnt vmcnt(1)
	v_mov_b32_e32 v39, v16
	v_mov_b32_e32 v16, v43
.LBB0_11:
	s_or_b64 exec, exec, s[2:3]
	s_mov_b32 s13, 0xbf4c4adb
	v_pk_add_f32 v[46:47], v[12:13], v[16:17] neg_lo:[0,1] neg_hi:[0,1]
	s_mov_b32 s21, 0xbf65296c
	s_mov_b32 s20, s13
	;; [unrolled: 1-line block ×4, first 2 shown]
	v_pk_mul_f32 v[44:45], v[46:47], s[20:21]
	s_mov_b32 s20, 0x3eb8f4ab
	s_mov_b32 s25, 0xbf06c442
	v_pk_add_f32 v[40:41], v[36:37], v[38:39]
	s_mov_b32 s11, 0xbf1a4643
	s_mov_b32 s16, 0x3dbcf732
	;; [unrolled: 1-line block ×6, first 2 shown]
	v_pk_add_f32 v[50:51], v[8:9], v[10:11] neg_lo:[0,1] neg_hi:[0,1]
	s_mov_b32 s26, s20
	s_mov_b32 s38, s13
	;; [unrolled: 1-line block ×4, first 2 shown]
	v_pk_mul_f32 v[52:53], v[40:41], s[16:17]
	s_mov_b32 s14, 0xbf7ee86f
	s_mov_b32 s17, 0x3ee437d1
	;; [unrolled: 1-line block ×3, first 2 shown]
	v_pk_mul_f32 v[54:55], v[50:51], s[26:27]
	s_mov_b32 s30, s11
	s_mov_b32 s31, s19
	v_pk_mul_f32 v[56:57], v[46:47], s[38:39] op_sel:[1,0]
	s_mov_b32 s26, s22
	s_mov_b32 s2, 0x3f6eb680
	v_pk_add_f32 v[48:49], v[26:27], v[18:19] neg_lo:[0,1] neg_hi:[0,1]
	s_mov_b32 s34, s28
	s_mov_b32 s35, s17
	v_pk_mul_f32 v[58:59], v[46:47], s[26:27] op_sel_hi:[0,1]
	s_mov_b32 s40, s9
	s_mov_b32 s41, s14
	v_pk_fma_f32 v[60:61], v[40:41], s[30:31], v[56:57] op_sel:[1,0,0] neg_lo:[0,0,1] neg_hi:[0,0,1]
	v_pk_add_f32 v[42:43], v[32:33], v[34:35]
	s_mov_b32 s36, s2
	s_mov_b32 s37, s16
	s_waitcnt vmcnt(0)
	v_pk_add_f32 v[60:61], v[60:61], v[6:7] op_sel_hi:[1,0]
	v_pk_fma_f32 v[62:63], v[40:41], s[34:35], v[58:59] op_sel_hi:[0,1,1] neg_lo:[0,0,1] neg_hi:[0,0,1]
	v_pk_mul_f32 v[74:75], v[48:49], s[40:41] op_sel:[1,0]
	s_mov_b32 s66, 0x3e3c28d5
	v_pk_add_f32 v[60:61], v[62:63], v[60:61]
	v_pk_fma_f32 v[62:63], v[42:43], s[36:37], v[74:75] op_sel:[1,0,0] neg_lo:[0,0,1] neg_hi:[0,0,1]
	s_mov_b32 s23, s66
	v_pk_add_f32 v[64:65], v[62:63], v[60:61]
	v_pk_mul_f32 v[62:63], v[48:49], s[22:23]
	s_mov_b32 s23, 0x3f2c7751
	s_mov_b32 s8, s23
	v_pk_add_f32 v[68:69], v[22:23], v[14:15] neg_lo:[0,1] neg_hi:[0,1]
	s_mov_b32 s50, s25
	v_pk_mul_f32 v[60:61], v[68:69], s[8:9]
	s_mov_b32 s8, 0x3f4c4adb
	s_mov_b32 s51, s8
	;; [unrolled: 1-line block ×4, first 2 shown]
	v_pk_mul_f32 v[76:77], v[48:49], s[50:51] op_sel_hi:[0,1]
	s_mov_b32 s63, 0x3f7ee86f
	s_mov_b32 s80, s7
	;; [unrolled: 1-line block ×3, first 2 shown]
	v_pk_fma_f32 v[66:67], v[42:43], s[42:43], v[76:77] op_sel_hi:[0,1,1] neg_lo:[0,0,1] neg_hi:[0,0,1]
	s_mov_b32 s52, s63
	s_mov_b32 s53, s9
	;; [unrolled: 1-line block ×5, first 2 shown]
	v_pk_mul_f32 v[80:81], v[40:41], s[80:81]
	v_pk_add_f32 v[66:67], v[66:67], v[64:65]
	s_mov_b32 s44, s16
	s_mov_b32 s45, s2
	v_pk_add_f32 v[64:65], v[28:29], v[30:31]
	v_pk_mul_f32 v[78:79], v[68:69], s[52:53] op_sel_hi:[0,1]
	v_pk_mul_f32 v[82:83], v[46:47], s[56:57]
	v_pk_fma_f32 v[84:85], v[46:47], s[56:57], v[80:81] neg_lo:[1,0,0] neg_hi:[1,0,0]
	v_pk_fma_f32 v[86:87], v[46:47], s[56:57], v[80:81]
	s_mov_b32 s57, s64
	v_pk_fma_f32 v[70:71], v[64:65], s[44:45], v[78:79] op_sel_hi:[0,1,1] neg_lo:[0,0,1] neg_hi:[0,0,1]
	s_mov_b32 s46, s7
	s_mov_b32 s47, s10
	v_pk_mul_f32 v[88:89], v[68:69], s[56:57] op_sel:[1,0]
	v_pk_add_f32 v[66:67], v[70:71], v[66:67]
	v_pk_fma_f32 v[70:71], v[64:65], s[46:47], v[88:89] op_sel:[1,0,0] neg_lo:[0,0,1] neg_hi:[0,0,1]
	s_mov_b32 s58, s64
	s_mov_b32 s59, s23
	v_pk_add_f32 v[66:67], v[70:71], v[66:67]
	s_mov_b32 s48, s10
	s_mov_b32 s49, s7
	v_pk_add_f32 v[70:71], v[20:21], v[24:25]
	v_pk_mul_f32 v[90:91], v[50:51], s[58:59] op_sel:[1,0]
	s_mov_b32 s15, s56
	v_pk_fma_f32 v[72:73], v[70:71], s[48:49], v[90:91] op_sel:[1,0,0] neg_lo:[0,0,1] neg_hi:[0,0,1]
	s_mov_b32 s60, s27
	v_pk_add_f32 v[72:73], v[72:73], v[66:67]
	v_pk_fma_f32 v[66:67], v[46:47], s[14:15], v[52:53] neg_lo:[1,0,0] neg_hi:[1,0,0]
	v_pk_fma_f32 v[52:53], v[46:47], s[14:15], v[52:53]
	s_mov_b32 s15, s21
	v_pk_mul_f32 v[92:93], v[48:49], s[14:15]
	s_mov_b32 s15, 0xbf763a35
	s_mov_b32 s61, s15
	;; [unrolled: 1-line block ×4, first 2 shown]
	v_pk_mul_f32 v[94:95], v[50:51], s[60:61] op_sel_hi:[0,1]
	v_pk_fma_f32 v[96:97], v[70:71], s[54:55], v[94:95] op_sel_hi:[0,1,1] neg_lo:[0,0,1] neg_hi:[0,0,1]
	v_pk_add_f32 v[72:73], v[96:97], v[72:73]
	s_movk_i32 s3, 0x44
	v_mov_b32_e32 v80, v73
	v_mad_u32_u24 v73, v2, s3, 0
	v_add_f32_e32 v53, v53, v6
	s_mov_b32 s82, s11
	s_mov_b32 s83, s17
	ds_write2_b32 v73, v80, v72 offset0:10 offset1:11
	v_add_f32_e32 v72, v52, v53
	v_pk_fma_f32 v[52:53], v[40:41], s[82:83], v[44:45]
	v_add_f32_e32 v3, v85, v6
	v_add_f32_e32 v53, v53, v6
	;; [unrolled: 1-line block ×4, first 2 shown]
	v_pk_fma_f32 v[52:53], v[42:43], s[16:17], v[92:93] neg_lo:[0,0,1] neg_hi:[0,0,1]
	s_mov_b32 s65, s13
	v_add_f32_e32 v3, v53, v3
	v_add_f32_e32 v3, v52, v3
	v_pk_mul_f32 v[52:53], v[42:43], s[10:11]
	s_mov_b32 s29, s10
	v_pk_fma_f32 v[84:85], v[48:49], s[64:65], v[52:53]
	s_mov_b32 s12, s15
	v_add_f32_e32 v72, v85, v72
	v_add_f32_e32 v106, v84, v72
	v_pk_fma_f32 v[84:85], v[42:43], s[28:29], v[62:63]
	s_mov_b32 s68, s28
	v_add_f32_e32 v72, v85, v80
	v_add_f32_e32 v72, v84, v72
	s_mov_b32 s69, s11
	v_pk_mul_f32 v[84:85], v[68:69], s[12:13]
	s_mov_b32 s70, s14
	v_pk_fma_f32 v[96:97], v[64:65], s[68:69], v[84:85] neg_lo:[0,0,1] neg_hi:[0,0,1]
	s_mov_b32 s71, s16
	v_add_f32_e32 v3, v96, v3
	v_add_f32_e32 v80, v97, v3
	v_pk_fma_f32 v[96:97], v[64:65], s[80:81], v[60:61]
	s_mov_b32 s24, s64
	v_add_f32_e32 v3, v96, v72
	v_add_f32_e32 v107, v97, v3
	v_mov_b32_e32 v96, v51
	v_mov_b32_e32 v97, v71
	v_pk_mul_f32 v[98:99], v[96:97], s[70:71]
	s_mov_b32 s18, s10
	v_mov_b32_e32 v3, v98
	v_mov_b32_e32 v72, v99
	v_pk_mul_f32 v[98:99], v[50:51], s[24:25]
	v_pk_fma_f32 v[100:101], v[96:97], s[70:71], v[2:3]
	v_pk_fma_f32 v[102:103], v[70:71], s[18:19], v[98:99] neg_lo:[0,0,1] neg_hi:[0,0,1]
	v_pk_fma_f32 v[96:97], v[96:97], s[70:71], v[72:73] neg_lo:[1,0,0] neg_hi:[1,0,0]
	v_add_f32_e32 v3, v103, v80
	v_add_f32_e32 v72, v102, v3
	;; [unrolled: 1-line block ×5, first 2 shown]
	v_mov_b32_e32 v102, v70
	v_mov_b32_e32 v103, v50
	s_mov_b32 s24, s19
	v_add_f32_e32 v3, v32, v3
	v_pk_mul_f32 v[104:105], v[102:103], s[24:25]
	v_add_f32_e32 v3, v28, v3
	v_mov_b32_e32 v80, v105
	v_add_f32_e32 v3, v29, v3
	v_pk_fma_f32 v[102:103], v[102:103], s[24:25], v[80:81] neg_lo:[0,0,1] neg_hi:[0,0,1]
	v_add_f32_e32 v80, v21, v3
	v_mov_b32_e32 v82, v20
	v_pk_add_f32 v[80:81], v[82:83], v[80:81]
	v_mov_b32_e32 v82, v24
	v_mov_b32_e32 v83, v6
	v_pk_add_f32 v[80:81], v[82:83], v[80:81]
	v_mov_b32_e32 v83, v86
	v_mov_b32_e32 v82, v25
	v_pk_add_f32 v[80:81], v[82:83], v[80:81]
	v_pk_fma_f32 v[82:83], v[42:43], s[16:17], v[92:93]
	v_mov_b32_e32 v86, v31
	v_mov_b32_e32 v87, v83
	v_pk_add_f32 v[80:81], v[86:87], v[80:81]
	v_mov_b32_e32 v83, v82
	v_mov_b32_e32 v82, v30
	v_pk_add_f32 v[80:81], v[82:83], v[80:81]
	v_pk_fma_f32 v[82:83], v[64:65], s[68:69], v[84:85]
	v_mov_b32_e32 v84, v34
	v_mov_b32_e32 v85, v82
	v_pk_add_f32 v[80:81], v[84:85], v[80:81]
	v_mov_b32_e32 v82, v35
	v_pk_add_f32 v[80:81], v[82:83], v[80:81]
	v_pk_fma_f32 v[82:83], v[70:71], s[18:19], v[98:99]
	v_pk_fma_f32 v[56:57], v[40:41], s[30:31], v[56:57] op_sel:[1,0,0]
	v_mov_b32_e32 v84, v38
	v_mov_b32_e32 v85, v83
	v_pk_add_f32 v[56:57], v[56:57], v[6:7] op_sel_hi:[1,0]
	v_pk_fma_f32 v[58:59], v[40:41], s[34:35], v[58:59] op_sel_hi:[0,1,1]
	v_pk_add_f32 v[80:81], v[84:85], v[80:81]
	v_mov_b32_e32 v83, v82
	v_mov_b32_e32 v82, v39
	s_mov_b32 s3, s17
	v_pk_add_f32 v[56:57], v[58:59], v[56:57]
	v_pk_fma_f32 v[58:59], v[42:43], s[36:37], v[74:75] op_sel:[1,0,0]
	v_pk_add_f32 v[80:81], v[82:83], v[80:81]
	v_pk_mul_f32 v[84:85], v[70:71], s[2:3]
	v_pk_add_f32 v[56:57], v[58:59], v[56:57]
	v_pk_fma_f32 v[58:59], v[42:43], s[42:43], v[76:77] op_sel_hi:[0,1,1]
	ds_write2_b32 v73, v80, v81 offset1:1
	v_pk_fma_f32 v[80:81], v[70:71], s[2:3], v[54:55]
	v_pk_fma_f32 v[82:83], v[70:71], s[2:3], v[54:55] neg_lo:[0,0,1] neg_hi:[0,0,1]
	v_mov_b32_e32 v55, v101
	v_mov_b32_e32 v85, v107
	v_pk_fma_f32 v[52:53], v[48:49], s[64:65], v[52:53] neg_lo:[1,0,0] neg_hi:[1,0,0]
	s_mov_b32 s68, s19
	s_mov_b32 s69, s28
	;; [unrolled: 1-line block ×3, first 2 shown]
	v_pk_add_f32 v[56:57], v[58:59], v[56:57]
	v_pk_fma_f32 v[58:59], v[64:65], s[44:45], v[78:79] op_sel_hi:[0,1,1]
	v_pk_add_f32 v[54:55], v[54:55], v[84:85]
	s_mov_b32 s84, s65
	s_mov_b32 s85, s22
	v_pk_mul_f32 v[84:85], v[64:65], s[68:69]
	v_pk_add_f32 v[56:57], v[58:59], v[56:57]
	v_pk_fma_f32 v[58:59], v[64:65], s[46:47], v[88:89] op_sel:[1,0,0]
	v_pk_fma_f32 v[86:87], v[68:69], s[84:85], v[84:85]
	v_pk_add_f32 v[56:57], v[58:59], v[56:57]
	v_pk_fma_f32 v[58:59], v[70:71], s[48:49], v[90:91] op_sel:[1,0,0]
	v_add_f32_e32 v3, v86, v106
	v_pk_add_f32 v[56:57], v[58:59], v[56:57]
	v_pk_fma_f32 v[58:59], v[70:71], s[54:55], v[94:95] op_sel_hi:[0,1,1]
	v_add_f32_e32 v80, v87, v3
	v_mov_b32_e32 v86, v81
	v_mov_b32_e32 v87, v105
	;; [unrolled: 1-line block ×3, first 2 shown]
	v_pk_add_f32 v[56:57], v[58:59], v[56:57]
	v_pk_add_f32 v[80:81], v[86:87], v[80:81]
	ds_write2_b32 v73, v56, v57 offset0:6 offset1:7
	v_mul_f32_e32 v56, 0xbf7ba420, v41
	v_mul_f32_e32 v58, 0xbe3c28d5, v47
	v_pk_add_f32 v[54:55], v[80:81], v[54:55]
	v_pk_add_f32 v[74:75], v[56:57], v[58:59]
	v_pk_add_f32 v[56:57], v[56:57], v[58:59] neg_lo:[0,1] neg_hi:[0,1]
	ds_write2_b32 v73, v54, v55 offset0:2 offset1:3
	s_mov_b32 s68, s16
	v_pk_mul_f32 v[54:55], v[46:47], s[14:15] op_sel:[1,0]
	v_pk_mul_f32 v[86:87], v[46:47], s[64:65] op_sel_hi:[0,1]
	v_mov_b32_e32 v75, v56
	v_mul_f32_e32 v46, 0x3eb8f4ab, v46
	v_mul_f32_e32 v56, 0x3f6eb680, v40
	v_pk_fma_f32 v[80:81], v[40:41], s[68:69], v[54:55] op_sel:[1,0,0]
	v_pk_add_f32 v[58:59], v[56:57], v[46:47]
	v_pk_add_f32 v[46:47], v[56:57], v[46:47] neg_lo:[0,1] neg_hi:[0,1]
	v_pk_add_f32 v[80:81], v[80:81], v[6:7] op_sel_hi:[1,0]
	v_pk_fma_f32 v[92:93], v[40:41], s[18:19], v[86:87] op_sel_hi:[0,1,1]
	v_mov_b32_e32 v59, v46
	v_pk_add_f32 v[46:47], v[74:75], v[6:7] op_sel_hi:[1,0]
	v_pk_add_f32 v[80:81], v[92:93], v[80:81]
	s_mov_b32 s6, s28
	v_pk_mul_f32 v[92:93], v[48:49], s[22:23] op_sel:[1,0]
	v_pk_add_f32 v[46:47], v[58:59], v[46:47]
	v_mul_f32_e32 v56, 0xbf59a7d5, v43
	v_mul_f32_e32 v58, 0xbf06c442, v49
	v_pk_fma_f32 v[98:99], v[42:43], s[6:7], v[92:93] op_sel:[1,0,0]
	v_pk_add_f32 v[74:75], v[56:57], v[58:59]
	v_pk_add_f32 v[56:57], v[56:57], v[58:59] neg_lo:[0,1] neg_hi:[0,1]
	v_pk_add_f32 v[80:81], v[98:99], v[80:81]
	v_pk_mul_f32 v[98:99], v[48:49], s[20:21] op_sel_hi:[0,1]
	v_mov_b32_e32 v75, v56
	v_mul_f32_e32 v48, 0x3f2c7751, v48
	v_mul_f32_e32 v56, 0x3f3d2fb0, v42
	v_pk_add_f32 v[58:59], v[56:57], v[48:49]
	v_pk_add_f32 v[48:49], v[56:57], v[48:49] neg_lo:[0,1] neg_hi:[0,1]
	v_pk_fma_f32 v[100:101], v[42:43], s[2:3], v[98:99] op_sel_hi:[0,1,1]
	s_mov_b32 s78, s21
	s_mov_b32 s79, s64
	v_pk_add_f32 v[46:47], v[74:75], v[46:47]
	v_mov_b32_e32 v59, v48
	v_mul_f32_e32 v48, 0xbf1a4643, v64
	v_mul_f32_e32 v56, 0xbf4c4adb, v68
	v_pk_add_f32 v[80:81], v[100:101], v[80:81]
	s_mov_b32 s70, s17
	s_mov_b32 s71, s10
	v_pk_mul_f32 v[100:101], v[68:69], s[78:79] op_sel_hi:[0,1]
	v_pk_add_f32 v[46:47], v[58:59], v[46:47]
	v_pk_add_f32 v[58:59], v[48:49], v[56:57]
	v_pk_add_f32 v[48:49], v[48:49], v[56:57] neg_lo:[0,1] neg_hi:[0,1]
	v_pk_fma_f32 v[104:105], v[64:65], s[70:71], v[100:101] op_sel_hi:[0,1,1]
	s_mov_b32 s62, s25
	v_mov_b32_e32 v59, v48
	v_pk_add_f32 v[80:81], v[104:105], v[80:81]
	s_mov_b32 s74, s19
	s_mov_b32 s75, s16
	v_pk_mul_f32 v[104:105], v[68:69], s[62:63] op_sel:[1,0]
	v_pk_add_f32 v[46:47], v[58:59], v[46:47]
	v_mul_f32_e32 v56, 0x3f65296c, v69
	v_mul_f32_e32 v58, 0x3ee437d1, v65
	v_pk_fma_f32 v[106:107], v[64:65], s[74:75], v[104:105] op_sel:[1,0,0]
	v_pk_fma_f32 v[48:49], v[68:69], s[84:85], v[84:85] neg_lo:[1,0,0] neg_hi:[1,0,0]
	v_pk_add_f32 v[68:69], v[58:59], v[56:57]
	v_pk_add_f32 v[56:57], v[58:59], v[56:57] neg_lo:[0,1] neg_hi:[0,1]
	v_pk_add_f32 v[80:81], v[106:107], v[80:81]
	s_mov_b32 s72, s11
	s_mov_b32 s73, s2
	v_pk_mul_f32 v[106:107], v[50:51], s[8:9] op_sel:[1,0]
	v_mov_b32_e32 v69, v56
	v_mul_f32_e32 v56, 0xbe8c1d8e, v71
	v_mul_f32_e32 v58, 0xbf763a35, v51
	v_pk_fma_f32 v[108:109], v[70:71], s[72:73], v[106:107] op_sel:[1,0,0]
	s_mov_b32 s12, s23
	v_pk_add_f32 v[46:47], v[68:69], v[46:47]
	v_pk_add_f32 v[68:69], v[56:57], v[58:59]
	v_pk_add_f32 v[56:57], v[56:57], v[58:59] neg_lo:[0,1] neg_hi:[0,1]
	v_pk_add_f32 v[80:81], v[108:109], v[80:81]
	v_pk_mul_f32 v[108:109], v[50:51], s[12:13] op_sel_hi:[0,1]
	v_mov_b32_e32 v69, v56
	v_mul_f32_e32 v50, 0x3f7ee86f, v50
	v_mul_f32_e32 v56, 0x3dbcf732, v70
	v_pk_add_f32 v[58:59], v[56:57], v[50:51]
	v_pk_add_f32 v[50:51], v[56:57], v[50:51] neg_lo:[0,1] neg_hi:[0,1]
	v_pk_add_f32 v[46:47], v[68:69], v[46:47]
	v_mov_b32_e32 v59, v50
	v_pk_add_f32 v[46:47], v[58:59], v[46:47]
	ds_write2_b32 v73, v46, v47 offset0:8 offset1:9
	v_pk_fma_f32 v[46:47], v[40:41], s[68:69], v[54:55] op_sel:[1,0,0] neg_lo:[0,0,1] neg_hi:[0,0,1]
	v_pk_fma_f32 v[44:45], v[40:41], s[82:83], v[44:45] neg_lo:[0,0,1] neg_hi:[0,0,1]
	v_pk_fma_f32 v[40:41], v[40:41], s[18:19], v[86:87] op_sel_hi:[0,1,1] neg_lo:[0,0,1] neg_hi:[0,0,1]
	v_pk_add_f32 v[46:47], v[46:47], v[6:7] op_sel_hi:[1,0]
	v_pk_fma_f32 v[50:51], v[64:65], s[74:75], v[104:105] op_sel:[1,0,0] neg_lo:[0,0,1] neg_hi:[0,0,1]
	v_pk_add_f32 v[40:41], v[40:41], v[46:47]
	v_pk_fma_f32 v[46:47], v[42:43], s[6:7], v[92:93] op_sel:[1,0,0] neg_lo:[0,0,1] neg_hi:[0,0,1]
	s_mov_b32 s76, s7
	v_pk_add_f32 v[40:41], v[46:47], v[40:41]
	v_pk_fma_f32 v[46:47], v[42:43], s[28:29], v[62:63] neg_lo:[0,0,1] neg_hi:[0,0,1]
	v_pk_fma_f32 v[42:43], v[42:43], s[2:3], v[98:99] op_sel_hi:[0,1,1] neg_lo:[0,0,1] neg_hi:[0,0,1]
	v_pk_add_f32 v[40:41], v[42:43], v[40:41]
	v_pk_fma_f32 v[42:43], v[64:65], s[70:71], v[100:101] op_sel_hi:[0,1,1] neg_lo:[0,0,1] neg_hi:[0,0,1]
	v_pk_add_f32 v[40:41], v[42:43], v[40:41]
	s_mov_b32 s77, s11
	v_pk_add_f32 v[40:41], v[50:51], v[40:41]
	v_pk_fma_f32 v[50:51], v[70:71], s[72:73], v[106:107] op_sel:[1,0,0] neg_lo:[0,0,1] neg_hi:[0,0,1]
	v_pk_fma_f32 v[42:43], v[64:65], s[80:81], v[60:61] neg_lo:[0,0,1] neg_hi:[0,0,1]
	v_pk_add_f32 v[40:41], v[50:51], v[40:41]
	v_pk_fma_f32 v[50:51], v[70:71], s[76:77], v[108:109] op_sel_hi:[0,1,1] neg_lo:[0,0,1] neg_hi:[0,0,1]
	v_pk_add_f32 v[40:41], v[50:51], v[40:41]
	ds_write2_b32 v73, v41, v40 offset0:12 offset1:13
	v_mov_b32_e32 v40, v45
	v_mov_b32_e32 v41, v67
	v_pk_add_f32 v[40:41], v[40:41], v[6:7] op_sel_hi:[1,0]
	v_mov_b32_e32 v45, v66
	v_pk_add_f32 v[40:41], v[44:45], v[40:41]
	v_mov_b32_e32 v44, v47
	v_mov_b32_e32 v45, v53
	v_pk_add_f32 v[40:41], v[44:45], v[40:41]
	v_mov_b32_e32 v47, v52
	v_pk_add_f32 v[40:41], v[46:47], v[40:41]
	v_mov_b32_e32 v44, v42
	v_mov_b32_e32 v45, v48
	v_pk_add_f32 v[40:41], v[44:45], v[40:41]
	v_mov_b32_e32 v48, v43
	v_pk_add_f32 v[40:41], v[48:49], v[40:41]
	v_mov_b32_e32 v97, v83
	v_lshlrev_b32_e32 v3, 6, v2
	v_pk_fma_f32 v[110:111], v[70:71], s[76:77], v[108:109] op_sel_hi:[0,1,1]
	v_pk_add_f32 v[40:41], v[96:97], v[40:41]
	v_mov_b32_e32 v103, v82
	v_sub_u32_e32 v3, v73, v3
	v_pk_add_f32 v[80:81], v[110:111], v[80:81]
	v_pk_add_f32 v[40:41], v[102:103], v[40:41]
	v_add_u32_e32 v71, 0x400, v3
	v_add_u32_e32 v74, 0x800, v3
	;; [unrolled: 1-line block ×5, first 2 shown]
	ds_write2_b32 v73, v80, v81 offset0:4 offset1:5
	ds_write2_b32 v73, v40, v41 offset0:14 offset1:15
	ds_write_b32 v73, v72 offset:64
	s_waitcnt lgkmcnt(0)
	s_barrier
	ds_read2_b32 v[42:43], v3 offset1:119
	ds_read2_b32 v[44:45], v71 offset0:33 offset1:152
	ds_read2_b32 v[46:47], v74 offset0:66 offset1:185
	;; [unrolled: 1-line block ×4, first 2 shown]
	v_add_u32_e32 v78, 0x1a00, v3
	ds_read2_b32 v[54:55], v77 offset0:37 offset1:156
	ds_read2_b32 v[52:53], v78 offset0:70 offset1:189
	v_cmp_gt_u32_e32 vcc, 51, v2
                                        ; implicit-def: $vgpr63
                                        ; implicit-def: $vgpr57
                                        ; implicit-def: $vgpr59
                                        ; implicit-def: $vgpr70
	s_and_saveexec_b64 s[80:81], vcc
	s_cbranch_execz .LBB0_13
; %bb.12:
	ds_read_b32 v40, v3 offset:952
	ds_read_b32 v41, v3 offset:2108
	;; [unrolled: 1-line block ×7, first 2 shown]
.LBB0_13:
	s_or_b64 exec, exec, s[80:81]
	v_pk_add_f32 v[66:67], v[36:37], v[38:39] neg_lo:[0,1] neg_hi:[0,1]
	v_mov_b32_e32 v64, v12
	v_mov_b32_e32 v65, v36
	;; [unrolled: 1-line block ×4, first 2 shown]
	v_pk_add_f32 v[60:61], v[64:65], v[36:37]
	v_pk_add_f32 v[68:69], v[64:65], v[36:37] neg_lo:[0,1] neg_hi:[0,1]
	v_mov_b32_e32 v36, v60
	v_mov_b32_e32 v37, v69
	s_mov_b32 s80, s7
	s_mov_b32 s81, s56
	v_pk_mul_f32 v[38:39], v[36:37], s[80:81]
	v_mov_b32_e32 v86, v27
	v_mov_b32_e32 v65, v38
	;; [unrolled: 1-line block ×5, first 2 shown]
	v_pk_fma_f32 v[84:85], v[36:37], s[80:81], v[64:65] neg_lo:[1,0,0] neg_hi:[1,0,0]
	v_pk_add_f32 v[64:65], v[86:87], v[88:89]
	v_pk_add_f32 v[86:87], v[86:87], v[88:89] neg_lo:[0,1] neg_hi:[0,1]
	v_add_f32_e32 v56, v13, v7
	v_mov_b32_e32 v88, v64
	v_mov_b32_e32 v89, v87
	s_mov_b32 s80, s17
	s_mov_b32 s81, s21
	v_add_f32_e32 v56, v12, v56
	v_pk_mul_f32 v[90:91], v[88:89], s[80:81]
	v_add_f32_e32 v56, v27, v56
	v_mov_b32_e32 v27, v90
	v_pk_fma_f32 v[88:89], v[88:89], s[80:81], v[26:27] neg_lo:[1,0,0] neg_hi:[1,0,0]
	v_mov_b32_e32 v27, v32
	v_mov_b32_e32 v32, v18
	;; [unrolled: 1-line block ×3, first 2 shown]
	v_add_f32_e32 v37, v38, v39
	v_add_f32_e32 v39, v90, v91
	v_pk_add_f32 v[90:91], v[26:27], v[32:33]
	v_pk_add_f32 v[92:93], v[26:27], v[32:33] neg_lo:[0,1] neg_hi:[0,1]
	v_add_f32_e32 v56, v26, v56
	v_mov_b32_e32 v26, v90
	v_mov_b32_e32 v27, v93
	s_mov_b32 s80, s16
	s_mov_b32 s81, s14
	v_pk_mul_f32 v[32:33], v[26:27], s[80:81]
	v_mov_b32_e32 v94, v14
	v_mov_b32_e32 v35, v32
	v_pk_fma_f32 v[26:27], v[26:27], s[80:81], v[34:35] neg_lo:[1,0,0] neg_hi:[1,0,0]
	v_mov_b32_e32 v34, v22
	v_mov_b32_e32 v35, v28
	;; [unrolled: 1-line block ×3, first 2 shown]
	v_add_f32_e32 v80, v22, v56
	v_pk_add_f32 v[96:97], v[34:35], v[94:95]
	v_pk_add_f32 v[94:95], v[34:35], v[94:95] neg_lo:[0,1] neg_hi:[0,1]
	v_mov_b32_e32 v12, v23
	v_mov_b32_e32 v81, v17
	;; [unrolled: 1-line block ×4, first 2 shown]
	s_mov_b32 s80, s28
	s_mov_b32 s81, s15
	v_pk_add_f32 v[12:13], v[12:13], v[80:81]
	v_mov_b32_e32 v81, 0x3f6eb680
	v_mov_b32_e32 v80, v9
	v_pk_mul_f32 v[98:99], v[34:35], s[80:81]
	v_pk_mul_f32 v[116:117], v[80:81], v[12:13]
	v_add_f32_e32 v79, v32, v33
	v_mul_f32_e32 v32, 0x3f2c7751, v93
	v_mov_b32_e32 v33, v98
	v_mov_b32_e32 v28, v23
	;; [unrolled: 1-line block ×3, first 2 shown]
	v_pk_add_f32 v[114:115], v[80:81], v[12:13]
	v_fmac_f32_e32 v117, 0xbeb8f4ab, v67
	v_pk_fma_f32 v[100:101], v[34:35], s[80:81], v[32:33] neg_lo:[1,0,0] neg_hi:[1,0,0]
	v_add_f32_e32 v35, v98, v99
	v_pk_add_f32 v[98:99], v[28:29], v[30:31]
	v_pk_add_f32 v[28:29], v[28:29], v[30:31] neg_lo:[0,1] neg_hi:[0,1]
	v_mov_b32_e32 v106, v9
	v_pk_add_f32 v[114:115], v[114:115], v[8:9]
	v_add_f32_e32 v9, v117, v7
	v_mov_b32_e32 v30, v98
	v_mov_b32_e32 v31, v29
	s_mov_b32 s80, s11
	s_mov_b32 s81, s13
	v_mov_b32_e32 v107, v21
	v_mov_b32_e32 v108, v11
	;; [unrolled: 1-line block ×3, first 2 shown]
	v_add_f32_e32 v9, v37, v9
	v_pk_mul_f32 v[102:103], v[30:31], s[80:81]
	v_pk_add_f32 v[110:111], v[106:107], v[108:109]
	v_pk_add_f32 v[106:107], v[106:107], v[108:109] neg_lo:[0,1] neg_hi:[0,1]
	v_add_f32_e32 v9, v39, v9
	v_mul_f32_e32 v83, 0xbeb8f4ab, v67
	v_mov_b32_e32 v33, v102
	v_mov_b32_e32 v108, v110
	;; [unrolled: 1-line block ×4, first 2 shown]
	v_add_f32_e32 v9, v79, v9
	v_pk_fma_f32 v[30:31], v[30:31], s[80:81], v[32:33] neg_lo:[1,0,0] neg_hi:[1,0,0]
	v_add_f32_e32 v33, v102, v103
	v_pk_mul_f32 v[112:113], v[108:109], s[24:25]
	v_pk_fma_f32 v[80:81], v[80:81], v[12:13], v[82:83] neg_lo:[0,0,1] neg_hi:[0,0,1]
	v_add_f32_e32 v9, v35, v9
	v_mov_b32_e32 v115, v81
	v_mov_b32_e32 v80, v10
	;; [unrolled: 1-line block ×4, first 2 shown]
	v_add_f32_e32 v9, v33, v9
	v_add_f32_e32 v11, v112, v113
	v_mov_b32_e32 v21, v112
	v_pk_add_f32 v[80:81], v[80:81], v[114:115]
	v_add_f32_e32 v23, v11, v9
	v_mov_b32_e32 v9, v20
	v_mov_b32_e32 v11, v24
	v_pk_fma_f32 v[108:109], v[108:109], s[24:25], v[20:21] neg_lo:[1,0,0] neg_hi:[1,0,0]
	v_pk_add_f32 v[80:81], v[84:85], v[80:81]
	v_mov_b32_e32 v88, v15
	v_pk_add_f32 v[20:21], v[8:9], v[10:11]
	v_pk_add_f32 v[10:11], v[8:9], v[10:11] neg_lo:[0,1] neg_hi:[0,1]
	v_pk_add_f32 v[80:81], v[88:89], v[80:81]
	v_mov_b32_e32 v15, v27
	v_mov_b32_e32 v8, v20
	;; [unrolled: 1-line block ×3, first 2 shown]
	s_mov_b32 s80, s10
	s_mov_b32 s81, s64
	v_pk_add_f32 v[14:15], v[14:15], v[80:81]
	v_mov_b32_e32 v100, v18
	v_pk_mul_f32 v[24:25], v[8:9], s[80:81]
	v_pk_add_f32 v[14:15], v[100:101], v[14:15]
	v_mov_b32_e32 v30, v19
	v_mul_f32_e32 v18, 0xbe8c1d8e, v110
	v_mov_b32_e32 v19, v24
	v_pk_add_f32 v[14:15], v[30:31], v[14:15]
	v_mov_b32_e32 v108, v16
	v_pk_fma_f32 v[8:9], v[8:9], s[80:81], v[18:19] neg_lo:[1,0,0] neg_hi:[1,0,0]
	v_pk_add_f32 v[14:15], v[108:109], v[14:15]
	v_mov_b32_e32 v8, v17
	v_pk_add_f32 v[14:15], v[8:9], v[14:15]
	v_add_f32_e32 v8, v24, v25
	s_mov_b32 s82, s21
	s_mov_b32 s83, s56
	v_add_f32_e32 v23, v8, v23
	s_mov_b32 s80, s17
	s_mov_b32 s81, s7
	v_pk_mul_f32 v[8:9], v[66:67], s[82:83] op_sel:[1,0]
	s_mov_b32 s84, s13
	s_mov_b32 s85, s14
	v_pk_fma_f32 v[24:25], v[12:13], s[80:81], v[8:9] op_sel:[1,0,0]
	s_mov_b32 s82, s11
	s_mov_b32 s83, s16
	v_pk_mul_f32 v[80:81], v[68:69], s[84:85] op_sel:[1,0]
	v_pk_add_f32 v[24:25], v[24:25], v[6:7] op_sel:[0,1]
	v_pk_fma_f32 v[82:83], v[60:61], s[82:83], v[80:81] op_sel_hi:[0,1,1]
	s_mov_b32 s67, s13
	v_pk_add_f32 v[24:25], v[82:83], v[24:25]
	v_pk_mul_f32 v[82:83], v[86:87], s[66:67] op_sel:[1,0]
	s_mov_b32 s66, s22
	v_pk_fma_f32 v[84:85], v[64:65], s[10:11], v[82:83] op_sel_hi:[0,1,1]
	s_mov_b32 s67, s64
	v_pk_add_f32 v[24:25], v[84:85], v[24:25]
	v_pk_mul_f32 v[84:85], v[92:93], s[66:67] op_sel:[1,0]
	s_mov_b32 s84, s23
	v_pk_fma_f32 v[88:89], v[90:91], s[28:29], v[84:85] op_sel_hi:[0,1,1]
	s_mov_b32 s85, s65
	v_pk_add_f32 v[24:25], v[88:89], v[24:25]
	s_mov_b32 s66, s7
	s_mov_b32 s67, s19
	v_pk_mul_f32 v[88:89], v[94:95], s[84:85] op_sel:[1,0]
	v_pk_fma_f32 v[8:9], v[12:13], s[80:81], v[8:9] op_sel:[1,0,0] neg_lo:[0,0,1] neg_hi:[0,0,1]
	v_pk_fma_f32 v[100:101], v[96:97], s[66:67], v[88:89] op_sel_hi:[0,1,1]
	s_mov_b32 s86, s9
	s_mov_b32 s87, s22
	v_pk_add_f32 v[8:9], v[8:9], v[6:7] op_sel:[0,1]
	v_pk_fma_f32 v[80:81], v[60:61], s[82:83], v[80:81] op_sel_hi:[0,1,1] neg_lo:[0,0,1] neg_hi:[0,0,1]
	v_pk_add_f32 v[24:25], v[100:101], v[24:25]
	s_mov_b32 s84, s2
	s_mov_b32 s85, s28
	v_pk_mul_f32 v[100:101], v[28:29], s[86:87] op_sel:[1,0]
	v_pk_add_f32 v[8:9], v[80:81], v[8:9]
	v_pk_fma_f32 v[80:81], v[64:65], s[10:11], v[82:83] op_sel_hi:[0,1,1] neg_lo:[0,0,1] neg_hi:[0,0,1]
	v_pk_fma_f32 v[108:109], v[98:99], s[84:85], v[100:101] op_sel_hi:[0,1,1]
	s_mov_b32 s86, s14
	s_mov_b32 s87, s27
	v_pk_add_f32 v[8:9], v[80:81], v[8:9]
	v_pk_fma_f32 v[80:81], v[90:91], s[28:29], v[84:85] op_sel_hi:[0,1,1] neg_lo:[0,0,1] neg_hi:[0,0,1]
	v_pk_add_f32 v[24:25], v[108:109], v[24:25]
	v_pk_mul_f32 v[108:109], v[106:107], s[86:87] op_sel:[1,0]
	v_pk_add_f32 v[8:9], v[80:81], v[8:9]
	v_pk_fma_f32 v[80:81], v[96:97], s[66:67], v[88:89] op_sel_hi:[0,1,1] neg_lo:[0,0,1] neg_hi:[0,0,1]
	v_pk_fma_f32 v[112:113], v[110:111], s[16:17], v[108:109] op_sel_hi:[0,1,1]
	s_mov_b32 s24, s25
	s_mov_b32 s25, s20
	v_pk_add_f32 v[8:9], v[80:81], v[8:9]
	v_pk_fma_f32 v[80:81], v[98:99], s[84:85], v[100:101] op_sel_hi:[0,1,1] neg_lo:[0,0,1] neg_hi:[0,0,1]
	v_pk_add_f32 v[24:25], v[112:113], v[24:25]
	s_mov_b32 s86, s19
	s_mov_b32 s87, s2
	v_pk_mul_f32 v[112:113], v[10:11], s[24:25] op_sel:[1,0]
	v_pk_add_f32 v[8:9], v[80:81], v[8:9]
	v_pk_fma_f32 v[80:81], v[110:111], s[16:17], v[108:109] op_sel_hi:[0,1,1] neg_lo:[0,0,1] neg_hi:[0,0,1]
	v_pk_fma_f32 v[114:115], v[20:21], s[86:87], v[112:113] op_sel_hi:[0,1,1]
	v_pk_add_f32 v[8:9], v[80:81], v[8:9]
	v_pk_fma_f32 v[80:81], v[20:21], s[86:87], v[112:113] op_sel_hi:[0,1,1] neg_lo:[0,0,1] neg_hi:[0,0,1]
	v_pk_add_f32 v[80:81], v[80:81], v[8:9]
	v_pk_add_f32 v[8:9], v[114:115], v[24:25]
	v_pk_mul_f32 v[24:25], v[66:67], s[14:15] op_sel:[1,0]
	v_pk_mul_f32 v[82:83], v[68:69], s[64:65] op_sel:[1,0]
	v_pk_fma_f32 v[122:123], v[12:13], s[68:69], v[24:25] op_sel:[1,0,0] neg_lo:[0,0,1] neg_hi:[0,0,1]
	v_pk_fma_f32 v[84:85], v[60:61], s[18:19], v[82:83] op_sel_hi:[0,1,1] neg_lo:[0,0,1] neg_hi:[0,0,1]
	v_pk_mul_f32 v[88:89], v[86:87], s[22:23] op_sel:[1,0]
	v_pk_add_f32 v[122:123], v[122:123], v[6:7] op_sel:[0,1]
	v_pk_fma_f32 v[100:101], v[64:65], s[6:7], v[88:89] op_sel_hi:[0,1,1] neg_lo:[0,0,1] neg_hi:[0,0,1]
	v_pk_mul_f32 v[108:109], v[92:93], s[20:21] op_sel:[1,0]
	v_pk_add_f32 v[84:85], v[84:85], v[122:123]
	v_pk_fma_f32 v[112:113], v[90:91], s[2:3], v[108:109] op_sel_hi:[0,1,1] neg_lo:[0,0,1] neg_hi:[0,0,1]
	v_pk_mul_f32 v[114:115], v[94:95], s[78:79] op_sel:[1,0]
	v_pk_add_f32 v[84:85], v[100:101], v[84:85]
	;; [unrolled: 3-line block ×3, first 2 shown]
	v_pk_fma_f32 v[24:25], v[12:13], s[68:69], v[24:25] op_sel:[1,0,0]
	v_pk_fma_f32 v[120:121], v[98:99], s[74:75], v[118:119] op_sel_hi:[0,1,1] neg_lo:[0,0,1] neg_hi:[0,0,1]
	v_pk_add_f32 v[84:85], v[116:117], v[84:85]
	v_pk_mul_f32 v[100:101], v[106:107], s[8:9] op_sel:[1,0]
	v_pk_fma_f32 v[82:83], v[60:61], s[18:19], v[82:83] op_sel_hi:[0,1,1]
	v_pk_add_f32 v[24:25], v[24:25], v[6:7] op_sel:[0,1]
	v_pk_add_f32 v[84:85], v[120:121], v[84:85]
	v_pk_fma_f32 v[112:113], v[110:111], s[72:73], v[100:101] op_sel_hi:[0,1,1] neg_lo:[0,0,1] neg_hi:[0,0,1]
	v_pk_fma_f32 v[88:89], v[64:65], s[6:7], v[88:89] op_sel_hi:[0,1,1]
	v_pk_add_f32 v[24:25], v[82:83], v[24:25]
	v_pk_add_f32 v[84:85], v[112:113], v[84:85]
	v_pk_mul_f32 v[112:113], v[10:11], s[12:13] op_sel:[1,0]
	v_pk_fma_f32 v[108:109], v[90:91], s[2:3], v[108:109] op_sel_hi:[0,1,1]
	v_pk_add_f32 v[24:25], v[88:89], v[24:25]
	v_pk_fma_f32 v[116:117], v[20:21], s[76:77], v[112:113] op_sel_hi:[0,1,1] neg_lo:[0,0,1] neg_hi:[0,0,1]
	v_pk_fma_f32 v[114:115], v[96:97], s[70:71], v[114:115] op_sel_hi:[0,1,1]
	v_pk_add_f32 v[24:25], v[108:109], v[24:25]
	v_pk_add_f32 v[84:85], v[116:117], v[84:85]
	v_pk_fma_f32 v[116:117], v[98:99], s[74:75], v[118:119] op_sel_hi:[0,1,1]
	v_pk_add_f32 v[24:25], v[114:115], v[24:25]
	v_mul_f32_e32 v56, 0xbe3c28d5, v67
	v_pk_add_f32 v[24:25], v[116:117], v[24:25]
	v_pk_fma_f32 v[82:83], v[110:111], s[72:73], v[100:101] op_sel_hi:[0,1,1]
	v_pk_mul_f32 v[66:67], v[66:67], s[38:39] op_sel:[1,0]
	v_mul_f32_e32 v38, 0x3eb8f4ab, v69
	v_pk_add_f32 v[24:25], v[82:83], v[24:25]
	v_pk_fma_f32 v[82:83], v[20:21], s[76:77], v[112:113] op_sel_hi:[0,1,1]
	v_pk_mul_f32 v[68:69], v[68:69], s[26:27] op_sel:[1,0]
	v_pk_fma_f32 v[114:115], v[12:13], s[30:31], v[66:67] op_sel:[1,0,0] neg_lo:[0,0,1] neg_hi:[0,0,1]
	v_mul_f32_e32 v62, 0xbf06c442, v87
	v_mul_f32_e32 v16, 0xbf7ba420, v13
	v_pk_add_f32 v[24:25], v[82:83], v[24:25]
	v_pk_fma_f32 v[82:83], v[60:61], s[34:35], v[68:69] op_sel_hi:[0,1,1] neg_lo:[0,0,1] neg_hi:[0,0,1]
	v_pk_mul_f32 v[86:87], v[86:87], s[40:41] op_sel:[1,0]
	v_pk_add_f32 v[114:115], v[114:115], v[6:7] op_sel:[0,1]
	v_pk_fma_f32 v[12:13], v[12:13], s[30:31], v[66:67] op_sel:[1,0,0]
	v_mul_f32_e32 v36, 0x3f6eb680, v60
	v_pk_fma_f32 v[88:89], v[64:65], s[36:37], v[86:87] op_sel_hi:[0,1,1] neg_lo:[0,0,1] neg_hi:[0,0,1]
	v_pk_mul_f32 v[92:93], v[92:93], s[50:51] op_sel:[1,0]
	v_pk_add_f32 v[82:83], v[82:83], v[114:115]
	v_pk_fma_f32 v[60:61], v[60:61], s[34:35], v[68:69] op_sel_hi:[0,1,1]
	v_pk_add_f32 v[12:13], v[12:13], v[6:7] op_sel:[0,1]
	v_mul_f32_e32 v58, 0xbf59a7d5, v64
	v_mul_f32_e32 v34, 0xbf4c4adb, v95
	v_pk_fma_f32 v[100:101], v[90:91], s[42:43], v[92:93] op_sel_hi:[0,1,1] neg_lo:[0,0,1] neg_hi:[0,0,1]
	v_pk_mul_f32 v[94:95], v[94:95], s[52:53] op_sel:[1,0]
	v_pk_add_f32 v[82:83], v[88:89], v[82:83]
	v_pk_fma_f32 v[64:65], v[64:65], s[36:37], v[86:87] op_sel_hi:[0,1,1]
	v_pk_add_f32 v[12:13], v[60:61], v[12:13]
	v_mul_f32_e32 v104, 0x3f65296c, v29
	v_pk_fma_f32 v[108:109], v[96:97], s[44:45], v[94:95] op_sel_hi:[0,1,1] neg_lo:[0,0,1] neg_hi:[0,0,1]
	v_pk_mul_f32 v[28:29], v[28:29], s[56:57] op_sel:[1,0]
	v_pk_add_f32 v[82:83], v[100:101], v[82:83]
	v_pk_fma_f32 v[68:69], v[90:91], s[42:43], v[92:93] op_sel_hi:[0,1,1]
	v_pk_add_f32 v[12:13], v[64:65], v[12:13]
	v_pk_fma_f32 v[112:113], v[98:99], s[46:47], v[28:29] op_sel_hi:[0,1,1] neg_lo:[0,0,1] neg_hi:[0,0,1]
	v_pk_add_f32 v[82:83], v[108:109], v[82:83]
	v_pk_mul_f32 v[88:89], v[106:107], s[58:59] op_sel:[1,0]
	v_pk_fma_f32 v[86:87], v[96:97], s[44:45], v[94:95] op_sel_hi:[0,1,1]
	v_pk_add_f32 v[12:13], v[68:69], v[12:13]
	v_pk_add_f32 v[82:83], v[112:113], v[82:83]
	v_pk_fma_f32 v[100:101], v[110:111], s[48:49], v[88:89] op_sel_hi:[0,1,1] neg_lo:[0,0,1] neg_hi:[0,0,1]
	v_pk_fma_f32 v[28:29], v[98:99], s[46:47], v[28:29] op_sel_hi:[0,1,1]
	v_pk_add_f32 v[12:13], v[86:87], v[12:13]
	v_pk_add_f32 v[82:83], v[100:101], v[82:83]
	v_pk_mul_f32 v[100:101], v[10:11], s[60:61] op_sel:[1,0]
	v_pk_add_f32 v[12:13], v[28:29], v[12:13]
	v_pk_fma_f32 v[28:29], v[110:111], s[48:49], v[88:89] op_sel_hi:[0,1,1]
	v_pk_add_f32 v[12:13], v[28:29], v[12:13]
	v_pk_fma_f32 v[28:29], v[20:21], s[54:55], v[100:101] op_sel_hi:[0,1,1]
	v_pk_add_f32 v[12:13], v[28:29], v[12:13]
	v_pk_add_f32 v[28:29], v[36:37], v[38:39] neg_lo:[0,1] neg_hi:[0,1]
	v_pk_add_f32 v[36:37], v[36:37], v[38:39]
	v_mul_f32_e32 v26, 0x3f3d2fb0, v90
	v_mov_b32_e32 v29, v36
	s_waitcnt lgkmcnt(1)
	v_pk_add_f32 v[36:37], v[58:59], v[62:63] neg_lo:[0,1] neg_hi:[0,1]
	v_pk_add_f32 v[38:39], v[58:59], v[62:63]
	v_mul_f32_e32 v22, 0xbf1a4643, v96
	v_mov_b32_e32 v37, v38
	v_pk_add_f32 v[38:39], v[26:27], v[32:33] neg_lo:[0,1] neg_hi:[0,1]
	v_pk_add_f32 v[26:27], v[26:27], v[32:33]
	v_mul_f32_e32 v102, 0x3ee437d1, v98
	v_mov_b32_e32 v39, v26
	v_pk_add_f32 v[26:27], v[22:23], v[34:35] neg_lo:[0,1] neg_hi:[0,1]
	v_pk_add_f32 v[32:33], v[22:23], v[34:35]
	v_pk_add_f32 v[34:35], v[102:103], v[104:105]
	v_mov_b32_e32 v27, v32
	v_pk_add_f32 v[32:33], v[102:103], v[104:105] neg_lo:[0,1] neg_hi:[0,1]
	v_mul_f32_e32 v30, 0xbf763a35, v107
	v_mov_b32_e32 v33, v34
	s_waitcnt lgkmcnt(0)
	v_pk_add_f32 v[34:35], v[16:17], v[56:57] neg_lo:[0,1] neg_hi:[0,1]
	v_pk_add_f32 v[16:17], v[16:17], v[56:57]
	v_pk_fma_f32 v[106:107], v[20:21], s[54:55], v[100:101] op_sel_hi:[0,1,1] neg_lo:[0,0,1] neg_hi:[0,0,1]
	v_mov_b32_e32 v35, v16
	v_pk_add_f32 v[6:7], v[34:35], v[6:7] op_sel:[0,1]
	v_pk_add_f32 v[16:17], v[18:19], v[30:31] neg_lo:[0,1] neg_hi:[0,1]
	v_pk_add_f32 v[6:7], v[28:29], v[6:7]
	v_pk_add_f32 v[18:19], v[18:19], v[30:31]
	;; [unrolled: 1-line block ×3, first 2 shown]
	v_mul_f32_e32 v10, 0x3dbcf732, v20
	v_pk_add_f32 v[6:7], v[38:39], v[6:7]
	v_mul_f32_e32 v20, 0x3f7ee86f, v11
	v_pk_add_f32 v[6:7], v[26:27], v[6:7]
	v_mov_b32_e32 v17, v18
	v_pk_add_f32 v[6:7], v[32:33], v[6:7]
	v_pk_add_f32 v[82:83], v[106:107], v[82:83]
	;; [unrolled: 1-line block ×3, first 2 shown]
	v_pk_add_f32 v[16:17], v[10:11], v[20:21] neg_lo:[0,1] neg_hi:[0,1]
	v_pk_add_f32 v[10:11], v[10:11], v[20:21]
	s_nop 0
	v_mov_b32_e32 v17, v10
	v_pk_add_f32 v[6:7], v[16:17], v[6:7]
	s_barrier
	ds_write2_b32 v73, v14, v15 offset1:1
	ds_write2_b32 v73, v81, v80 offset0:2 offset1:3
	ds_write2_b32 v73, v84, v85 offset0:4 offset1:5
	;; [unrolled: 1-line block ×7, first 2 shown]
	ds_write_b32 v73, v23 offset:64
	s_waitcnt lgkmcnt(0)
	s_barrier
	ds_read2_b32 v[6:7], v3 offset1:119
	ds_read2_b32 v[20:21], v71 offset0:33 offset1:152
	ds_read2_b32 v[18:19], v74 offset0:66 offset1:185
	;; [unrolled: 1-line block ×6, first 2 shown]
                                        ; implicit-def: $vgpr32
                                        ; implicit-def: $vgpr36
                                        ; implicit-def: $vgpr34
                                        ; implicit-def: $vgpr30
	s_and_saveexec_b64 s[2:3], vcc
	s_cbranch_execz .LBB0_15
; %bb.14:
	ds_read_b32 v8, v3 offset:952
	ds_read_b32 v9, v3 offset:2108
	;; [unrolled: 1-line block ×7, first 2 shown]
.LBB0_15:
	s_or_b64 exec, exec, s[2:3]
	s_movk_i32 s2, 0xf1
	v_add_u16_e32 v25, 0x77, v2
	v_mul_lo_u16_sdwa v22, v2, s2 dst_sel:DWORD dst_unused:UNUSED_PAD src0_sel:BYTE_0 src1_sel:DWORD
	v_mul_lo_u16_sdwa v26, v25, s2 dst_sel:DWORD dst_unused:UNUSED_PAD src0_sel:BYTE_0 src1_sel:DWORD
	v_lshrrev_b16_e32 v65, 12, v22
	v_lshrrev_b16_e32 v73, 12, v26
	v_mul_lo_u16_e32 v22, 17, v65
	v_mul_lo_u16_e32 v26, 17, v73
	v_sub_u16_e32 v71, v2, v22
	v_mov_b32_e32 v22, 6
	v_sub_u16_e32 v106, v25, v26
	v_mul_u32_u24_sdwa v24, v71, v22 dst_sel:DWORD dst_unused:UNUSED_PAD src0_sel:BYTE_0 src1_sel:DWORD
	v_mul_u32_u24_sdwa v22, v106, v22 dst_sel:DWORD dst_unused:UNUSED_PAD src0_sel:BYTE_0 src1_sel:DWORD
	v_lshlrev_b32_e32 v24, 3, v24
	v_lshlrev_b32_e32 v22, 3, v22
	global_load_dwordx4 v[66:69], v24, s[4:5]
	global_load_dwordx4 v[74:77], v24, s[4:5] offset:16
	global_load_dwordx4 v[78:81], v24, s[4:5] offset:32
	global_load_dwordx4 v[82:85], v22, s[4:5]
	v_add_u32_e32 v24, 0xee, v2
	s_mov_b32 s2, 0xf0f1
	global_load_dwordx4 v[86:89], v22, s[4:5] offset:32
	global_load_dwordx4 v[90:93], v22, s[4:5] offset:16
	v_mul_u32_u24_sdwa v22, v24, s2 dst_sel:DWORD dst_unused:UNUSED_PAD src0_sel:WORD_0 src1_sel:DWORD
	v_lshrrev_b32_e32 v26, 20, v22
	v_mul_lo_u16_e32 v22, 17, v26
	v_sub_u16_e32 v107, v24, v22
	v_mul_u32_u24_e32 v22, 6, v107
	v_lshlrev_b32_e32 v22, 3, v22
	global_load_dwordx4 v[94:97], v22, s[4:5]
	global_load_dwordx4 v[98:101], v22, s[4:5] offset:16
	global_load_dwordx4 v[102:105], v22, s[4:5] offset:32
	s_mov_b32 s6, 0xbf5ff5aa
	s_mov_b32 s7, 0x3f3bfb3b
	;; [unrolled: 1-line block ×4, first 2 shown]
	s_waitcnt lgkmcnt(0)
	s_barrier
	s_waitcnt vmcnt(8)
	v_mul_f32_e32 v56, v20, v67
	v_mul_f32_e32 v31, v44, v67
	;; [unrolled: 1-line block ×3, first 2 shown]
	s_waitcnt vmcnt(7)
	v_mul_f32_e32 v60, v16, v75
	v_mul_f32_e32 v35, v48, v75
	;; [unrolled: 1-line block ×3, first 2 shown]
	s_waitcnt vmcnt(6)
	v_mul_f32_e32 v64, v10, v81
	v_mul_f32_e32 v75, v52, v81
	s_waitcnt vmcnt(3)
	v_mul_f32_e32 v81, v49, v91
	v_mul_f32_e32 v33, v46, v69
	;; [unrolled: 1-line block ×4, first 2 shown]
	v_fmac_f32_e32 v58, v46, v68
	v_fma_f32 v46, v14, v76, -v67
	v_fma_f32 v14, v17, v90, -v81
	s_waitcnt vmcnt(1)
	v_mul_f32_e32 v17, v70, v99
	v_mul_f32_e32 v29, v30, v99
	v_fma_f32 v30, v30, v98, -v17
	v_mul_f32_e32 v17, v63, v101
	v_mul_f32_e32 v62, v12, v79
	v_fma_f32 v20, v20, v66, -v31
	v_mul_f32_e32 v31, v32, v101
	v_fma_f32 v32, v32, v100, -v17
	s_waitcnt vmcnt(0)
	v_mul_f32_e32 v17, v59, v103
	v_mul_f32_e32 v69, v54, v79
	;; [unrolled: 1-line block ×3, first 2 shown]
	v_fmac_f32_e32 v56, v44, v66
	v_fma_f32 v18, v18, v68, -v33
	v_fmac_f32_e32 v62, v54, v78
	v_fmac_f32_e32 v64, v52, v80
	v_mul_f32_e32 v33, v34, v103
	v_fma_f32 v34, v34, v102, -v17
	v_mul_f32_e32 v17, v57, v105
	v_mul_f32_e32 v22, v21, v83
	;; [unrolled: 1-line block ×9, first 2 shown]
	v_fmac_f32_e32 v60, v48, v74
	v_fma_f32 v44, v16, v74, -v35
	v_fmac_f32_e32 v61, v50, v76
	v_fma_f32 v48, v12, v78, -v69
	v_fma_f32 v50, v10, v80, -v75
	;; [unrolled: 1-line block ×3, first 2 shown]
	v_mul_f32_e32 v35, v36, v105
	v_fma_f32 v36, v36, v104, -v17
	v_add_f32_e32 v17, v56, v64
	v_add_f32_e32 v21, v58, v62
	v_mul_f32_e32 v37, v15, v93
	v_mul_f32_e32 v39, v11, v89
	;; [unrolled: 1-line block ×4, first 2 shown]
	v_fmac_f32_e32 v22, v45, v82
	v_fmac_f32_e32 v24, v47, v84
	v_fma_f32 v12, v19, v84, -v79
	v_fma_f32 v16, v11, v88, -v87
	v_fmac_f32_e32 v27, v41, v94
	v_fma_f32 v11, v23, v96, -v91
	v_sub_f32_e32 v19, v20, v50
	v_sub_f32_e32 v23, v18, v48
	v_add_f32_e32 v41, v60, v61
	v_sub_f32_e32 v45, v46, v44
	v_add_f32_e32 v47, v21, v17
	v_mul_f32_e32 v83, v51, v93
	v_fmac_f32_e32 v25, v49, v90
	v_fmac_f32_e32 v37, v51, v92
	v_sub_f32_e32 v49, v21, v17
	v_sub_f32_e32 v17, v17, v41
	;; [unrolled: 1-line block ×3, first 2 shown]
	v_add_f32_e32 v51, v45, v23
	v_sub_f32_e32 v52, v45, v23
	v_sub_f32_e32 v23, v23, v19
	v_add_f32_e32 v41, v41, v47
	v_sub_f32_e32 v45, v19, v45
	v_add_f32_e32 v19, v51, v19
	v_add_f32_e32 v47, v42, v41
	v_mul_f32_e32 v17, 0x3f4a47b2, v17
	v_mul_f32_e32 v42, 0x3d64c772, v21
	;; [unrolled: 1-line block ×4, first 2 shown]
	v_fmamk_f32 v41, v41, 0xbf955555, v47
	v_fma_f32 v42, v49, s7, -v42
	v_fma_f32 v49, v49, s8, -v17
	v_fmac_f32_e32 v17, 0x3d64c772, v21
	v_fma_f32 v21, v23, s6, -v51
	v_fmac_f32_e32 v51, 0xbeae86e6, v45
	;; [unrolled: 2-line block ×3, first 2 shown]
	v_fmac_f32_e32 v39, v53, v88
	v_add_f32_e32 v17, v17, v41
	v_add_f32_e32 v42, v42, v41
	;; [unrolled: 1-line block ×3, first 2 shown]
	v_fmac_f32_e32 v51, 0xbee1c552, v19
	v_fmac_f32_e32 v23, 0xbee1c552, v19
	v_fma_f32 v15, v15, v92, -v83
	v_fma_f32 v13, v13, v86, -v85
	v_fmac_f32_e32 v21, 0xbee1c552, v19
	v_add_f32_e32 v19, v51, v17
	v_add_f32_e32 v45, v23, v41
	v_sub_f32_e32 v23, v41, v23
	v_sub_f32_e32 v17, v17, v51
	v_add_f32_e32 v41, v22, v39
	v_add_f32_e32 v51, v24, v38
	v_sub_f32_e32 v52, v12, v13
	v_add_f32_e32 v53, v25, v37
	v_sub_f32_e32 v54, v15, v14
	v_add_f32_e32 v55, v51, v41
	v_fmac_f32_e32 v31, v63, v100
	v_fmac_f32_e32 v33, v59, v102
	;; [unrolled: 1-line block ×3, first 2 shown]
	v_sub_f32_e32 v49, v42, v21
	v_add_f32_e32 v21, v21, v42
	v_sub_f32_e32 v42, v10, v16
	v_sub_f32_e32 v57, v51, v41
	;; [unrolled: 1-line block ×4, first 2 shown]
	v_add_f32_e32 v59, v54, v52
	v_sub_f32_e32 v63, v54, v52
	v_add_f32_e32 v53, v53, v55
	v_sub_f32_e32 v54, v42, v54
	v_sub_f32_e32 v52, v52, v42
	v_add_f32_e32 v42, v59, v42
	v_add_f32_e32 v55, v43, v53
	v_mul_f32_e32 v41, 0x3f4a47b2, v41
	v_mul_f32_e32 v43, 0x3d64c772, v51
	;; [unrolled: 1-line block ×4, first 2 shown]
	v_fmamk_f32 v53, v53, 0xbf955555, v55
	v_fma_f32 v43, v57, s7, -v43
	v_fma_f32 v57, v57, s8, -v41
	v_fmac_f32_e32 v41, 0x3d64c772, v51
	v_fma_f32 v51, v52, s6, -v59
	v_fma_f32 v52, v54, s9, -v63
	v_add_f32_e32 v43, v43, v53
	v_fmac_f32_e32 v51, 0xbee1c552, v42
	v_fmac_f32_e32 v59, 0xbeae86e6, v54
	v_add_f32_e32 v41, v41, v53
	v_add_f32_e32 v53, v57, v53
	v_fmac_f32_e32 v52, 0xbee1c552, v42
	v_sub_f32_e32 v63, v43, v51
	v_add_f32_e32 v51, v51, v43
	v_mov_b32_e32 v43, 2
	v_fmac_f32_e32 v59, 0xbee1c552, v42
	v_add_f32_e32 v57, v52, v53
	v_sub_f32_e32 v52, v53, v52
	v_mul_u32_u24_e32 v42, 0x1dc, v65
	v_lshlrev_b32_sdwa v53, v43, v71 dst_sel:DWORD dst_unused:UNUSED_PAD src0_sel:DWORD src1_sel:BYTE_0
	v_add3_u32 v42, 0, v42, v53
	ds_write2_b32 v42, v47, v19 offset1:17
	ds_write2_b32 v42, v45, v49 offset0:34 offset1:51
	ds_write2_b32 v42, v21, v23 offset0:68 offset1:85
	ds_write_b32 v42, v17 offset:408
	v_mul_u32_u24_e32 v17, 0x1dc, v73
	v_lshlrev_b32_sdwa v19, v43, v106 dst_sel:DWORD dst_unused:UNUSED_PAD src0_sel:DWORD src1_sel:BYTE_0
	v_add_f32_e32 v54, v59, v41
	v_sub_f32_e32 v41, v41, v59
	v_add3_u32 v43, 0, v17, v19
	v_fma_f32 v9, v9, v94, -v89
	v_fmac_f32_e32 v28, v72, v96
	v_fmac_f32_e32 v29, v70, v98
	ds_write2_b32 v43, v55, v54 offset1:17
	ds_write2_b32 v43, v57, v63 offset0:34 offset1:51
	ds_write2_b32 v43, v51, v52 offset0:68 offset1:85
	ds_write_b32 v43, v41 offset:408
	v_lshlrev_b32_e32 v41, 2, v107
	s_and_saveexec_b64 s[2:3], vcc
	s_cbranch_execz .LBB0_17
; %bb.16:
	v_add_f32_e32 v17, v27, v35
	v_add_f32_e32 v23, v28, v33
	;; [unrolled: 1-line block ×4, first 2 shown]
	v_sub_f32_e32 v51, v32, v30
	v_sub_f32_e32 v53, v11, v34
	;; [unrolled: 1-line block ×4, first 2 shown]
	v_add_f32_e32 v19, v19, v49
	v_sub_f32_e32 v49, v9, v36
	v_sub_f32_e32 v54, v51, v53
	v_mul_f32_e32 v21, 0x3f4a47b2, v21
	v_mul_f32_e32 v47, 0x3d64c772, v45
	v_add_f32_e32 v40, v40, v19
	v_sub_f32_e32 v52, v49, v51
	v_mul_f32_e32 v54, 0x3f08b237, v54
	v_add_f32_e32 v51, v51, v53
	v_sub_f32_e32 v17, v23, v17
	v_sub_f32_e32 v23, v53, v49
	v_fmamk_f32 v45, v45, 0x3d64c772, v21
	v_fmamk_f32 v19, v19, 0xbf955555, v40
	;; [unrolled: 1-line block ×3, first 2 shown]
	v_add_f32_e32 v51, v51, v49
	v_fma_f32 v21, v17, s8, -v21
	v_mul_f32_e32 v49, 0xbf5ff5aa, v23
	v_fma_f32 v23, v23, s6, -v54
	v_fma_f32 v17, v17, s7, -v47
	v_add_f32_e32 v45, v45, v19
	v_fmac_f32_e32 v55, 0xbee1c552, v51
	v_fmac_f32_e32 v23, 0xbee1c552, v51
	v_add_f32_e32 v17, v17, v19
	v_sub_f32_e32 v57, v45, v55
	v_add_f32_e32 v21, v21, v19
	v_add_f32_e32 v19, v23, v17
	v_sub_f32_e32 v17, v17, v23
	v_add_f32_e32 v23, v55, v45
	v_mul_lo_u16_e32 v45, 0x77, v26
	v_fma_f32 v49, v52, s9, -v49
	v_lshlrev_b32_e32 v45, 2, v45
	v_fmac_f32_e32 v49, 0xbee1c552, v51
	v_add3_u32 v45, 0, v41, v45
	v_sub_f32_e32 v52, v21, v49
	v_add_f32_e32 v21, v49, v21
	ds_write2_b32 v45, v40, v23 offset1:17
	ds_write2_b32 v45, v21, v17 offset0:34 offset1:51
	ds_write2_b32 v45, v19, v52 offset0:68 offset1:85
	ds_write_b32 v45, v57 offset:408
.LBB0_17:
	s_or_b64 exec, exec, s[2:3]
	v_add_f32_e32 v17, v20, v50
	v_add_f32_e32 v18, v18, v48
	v_sub_f32_e32 v20, v58, v62
	v_add_f32_e32 v21, v44, v46
	v_sub_f32_e32 v23, v61, v60
	;; [unrolled: 2-line block ×3, first 2 shown]
	v_sub_f32_e32 v44, v18, v17
	v_sub_f32_e32 v17, v17, v21
	v_sub_f32_e32 v18, v21, v18
	v_add_f32_e32 v45, v23, v20
	v_sub_f32_e32 v46, v23, v20
	v_add_f32_e32 v21, v21, v40
	v_sub_f32_e32 v23, v19, v23
	v_sub_f32_e32 v20, v20, v19
	v_add_f32_e32 v19, v45, v19
	v_add_f32_e32 v40, v6, v21
	v_mul_f32_e32 v6, 0x3f4a47b2, v17
	v_mul_f32_e32 v17, 0x3d64c772, v18
	v_mul_f32_e32 v45, 0x3f08b237, v46
	v_fmamk_f32 v21, v21, 0xbf955555, v40
	v_fma_f32 v17, v44, s7, -v17
	v_fma_f32 v44, v44, s8, -v6
	v_fmac_f32_e32 v6, 0x3d64c772, v18
	v_fma_f32 v18, v20, s6, -v45
	v_fmac_f32_e32 v45, 0xbeae86e6, v23
	v_add_f32_e32 v6, v6, v21
	v_fmac_f32_e32 v45, 0xbee1c552, v19
	v_mul_f32_e32 v46, 0xbf5ff5aa, v20
	v_add_f32_e32 v17, v17, v21
	v_add_f32_e32 v21, v44, v21
	v_sub_f32_e32 v44, v6, v45
	v_add_f32_e32 v45, v45, v6
	v_add_f32_e32 v6, v10, v16
	;; [unrolled: 1-line block ×3, first 2 shown]
	v_fma_f32 v20, v23, s9, -v46
	v_fmac_f32_e32 v18, 0xbee1c552, v19
	v_sub_f32_e32 v13, v24, v38
	v_add_f32_e32 v14, v14, v15
	v_sub_f32_e32 v15, v37, v25
	v_add_f32_e32 v16, v12, v6
	v_fmac_f32_e32 v20, 0xbee1c552, v19
	v_add_f32_e32 v47, v18, v17
	v_sub_f32_e32 v48, v17, v18
	v_sub_f32_e32 v10, v22, v39
	;; [unrolled: 1-line block ×6, first 2 shown]
	v_add_f32_e32 v14, v14, v16
	v_add_f32_e32 v18, v15, v13
	v_sub_f32_e32 v13, v13, v10
	v_add_f32_e32 v38, v7, v14
	v_mul_f32_e32 v6, 0x3f4a47b2, v6
	v_mul_f32_e32 v7, 0x3d64c772, v12
	;; [unrolled: 1-line block ×3, first 2 shown]
	v_sub_f32_e32 v15, v10, v15
	v_add_f32_e32 v10, v18, v10
	v_fmamk_f32 v14, v14, 0xbf955555, v38
	v_fma_f32 v7, v17, s7, -v7
	v_fma_f32 v17, v17, s8, -v6
	v_fmac_f32_e32 v6, 0x3d64c772, v12
	v_fma_f32 v12, v13, s6, -v16
	v_mul_f32_e32 v18, 0xbf5ff5aa, v13
	v_fmac_f32_e32 v16, 0xbeae86e6, v15
	v_add_f32_e32 v7, v7, v14
	v_fmac_f32_e32 v12, 0xbee1c552, v10
	v_fma_f32 v13, v15, s9, -v18
	v_add_f32_e32 v6, v6, v14
	v_fmac_f32_e32 v16, 0xbee1c552, v10
	v_add_f32_e32 v51, v12, v7
	v_sub_f32_e32 v52, v7, v12
	v_add_u32_e32 v12, 0x400, v3
	v_add_f32_e32 v14, v17, v14
	v_fmac_f32_e32 v13, 0xbee1c552, v10
	v_sub_f32_e32 v39, v6, v16
	v_add_f32_e32 v54, v16, v6
	s_waitcnt lgkmcnt(0)
	s_barrier
	ds_read2_b32 v[16:17], v12 offset0:101 offset1:220
	v_add_u32_e32 v12, 0x800, v3
	v_sub_f32_e32 v46, v21, v20
	v_add_f32_e32 v49, v20, v21
	v_sub_f32_e32 v50, v14, v13
	v_add_f32_e32 v53, v13, v14
	v_lshl_add_u32 v37, v2, 2, 0
	ds_read2_b32 v[14:15], v12 offset0:83 offset1:202
	v_add_u32_e32 v12, 0xc00, v3
	v_add_u32_e32 v18, 0x1000, v3
	;; [unrolled: 1-line block ×5, first 2 shown]
	ds_read2_b32 v[6:7], v3 offset1:119
	ds_read_b32 v10, v37 offset:952
	ds_read2_b32 v[12:13], v12 offset0:65 offset1:184
	ds_read2_b32 v[18:19], v18 offset0:47 offset1:166
	ds_read2_b32 v[20:21], v20 offset0:29 offset1:148
	ds_read2_b32 v[22:23], v22 offset0:11 offset1:130
	ds_read2_b32 v[24:25], v24 offset0:121 offset1:240
	s_waitcnt lgkmcnt(0)
	s_barrier
	ds_write2_b32 v42, v40, v44 offset1:17
	ds_write2_b32 v42, v46, v47 offset0:34 offset1:51
	ds_write2_b32 v42, v48, v49 offset0:68 offset1:85
	ds_write_b32 v42, v45 offset:408
	ds_write2_b32 v43, v38, v39 offset1:17
	ds_write2_b32 v43, v50, v51 offset0:34 offset1:51
	ds_write2_b32 v43, v52, v53 offset0:68 offset1:85
	ds_write_b32 v43, v54 offset:408
	s_and_saveexec_b64 s[2:3], vcc
	s_cbranch_execz .LBB0_19
; %bb.18:
	v_add_f32_e32 v9, v9, v36
	v_add_f32_e32 v11, v11, v34
	;; [unrolled: 1-line block ×3, first 2 shown]
	v_sub_f32_e32 v28, v28, v33
	v_sub_f32_e32 v29, v31, v29
	v_add_f32_e32 v31, v11, v9
	v_sub_f32_e32 v32, v11, v9
	v_sub_f32_e32 v11, v30, v11
	;; [unrolled: 1-line block ×4, first 2 shown]
	v_add_f32_e32 v33, v29, v28
	v_sub_f32_e32 v34, v29, v28
	v_add_f32_e32 v30, v30, v31
	v_mul_f32_e32 v31, 0x3d64c772, v11
	v_sub_f32_e32 v29, v27, v29
	v_sub_f32_e32 v28, v28, v27
	v_add_f32_e32 v27, v33, v27
	v_add_f32_e32 v8, v8, v30
	v_mul_f32_e32 v9, 0x3f4a47b2, v9
	v_mul_f32_e32 v33, 0x3f08b237, v34
	v_fma_f32 v31, v32, s7, -v31
	s_mov_b32 s7, 0xbf3bfb3b
	v_mul_f32_e32 v34, 0xbf5ff5aa, v28
	v_fmamk_f32 v30, v30, 0xbf955555, v8
	v_fma_f32 v32, v32, s7, -v9
	v_fmac_f32_e32 v9, 0x3d64c772, v11
	v_fmamk_f32 v11, v29, 0xbeae86e6, v33
	v_fma_f32 v28, v28, s6, -v33
	s_mov_b32 s6, 0x3eae86e6
	v_fma_f32 v29, v29, s6, -v34
	v_add_f32_e32 v9, v9, v30
	v_fmac_f32_e32 v11, 0xbee1c552, v27
	v_fmac_f32_e32 v28, 0xbee1c552, v27
	;; [unrolled: 1-line block ×3, first 2 shown]
	v_sub_f32_e32 v27, v9, v11
	v_add_f32_e32 v9, v11, v9
	v_mul_lo_u16_e32 v11, 0x77, v26
	v_lshlrev_b32_e32 v11, 2, v11
	v_add_f32_e32 v31, v31, v30
	v_add_f32_e32 v30, v32, v30
	v_add3_u32 v11, 0, v41, v11
	v_sub_f32_e32 v32, v30, v29
	v_add_f32_e32 v33, v28, v31
	v_sub_f32_e32 v28, v31, v28
	v_add_f32_e32 v29, v29, v30
	ds_write2_b32 v11, v8, v27 offset1:17
	ds_write2_b32 v11, v32, v33 offset0:34 offset1:51
	ds_write2_b32 v11, v28, v29 offset0:68 offset1:85
	ds_write_b32 v11, v9 offset:408
.LBB0_19:
	s_or_b64 exec, exec, s[2:3]
	s_waitcnt lgkmcnt(0)
	s_barrier
	s_and_saveexec_b64 s[2:3], s[0:1]
	s_cbranch_execz .LBB0_21
; %bb.20:
	v_lshlrev_b32_e32 v8, 4, v2
	v_mov_b32_e32 v9, 0
	v_lshl_add_u64 v[8:9], v[8:9], 3, s[4:5]
	global_load_dwordx4 v[26:29], v[8:9], off offset:928
	global_load_dwordx4 v[30:33], v[8:9], off offset:912
	;; [unrolled: 1-line block ×7, first 2 shown]
	ds_read2_b32 v[34:35], v3 offset1:119
	v_add_u32_e32 v11, 0x1a00, v3
	ds_read_b32 v72, v37 offset:952
	v_add_u32_e32 v37, 0x400, v3
	v_add_u32_e32 v39, 0x1800, v3
	;; [unrolled: 1-line block ×6, first 2 shown]
	v_lshl_add_u64 v[0:1], v[4:5], 3, v[0:1]
	global_load_dwordx4 v[2:5], v[8:9], off offset:816
	ds_read2_b32 v[74:75], v11 offset0:121 offset1:240
	ds_read2_b32 v[76:77], v37 offset0:101 offset1:220
	;; [unrolled: 1-line block ×7, first 2 shown]
	v_mov_b32_e32 v8, v13
	s_waitcnt lgkmcnt(6)
	v_mov_b32_e32 v88, v75
	s_waitcnt lgkmcnt(4)
	;; [unrolled: 2-line block ×3, first 2 shown]
	v_mov_b32_e32 v92, v83
	v_mov_b32_e32 v36, v25
	;; [unrolled: 1-line block ×6, first 2 shown]
	s_waitcnt lgkmcnt(1)
	v_mov_b32_e32 v94, v85
	s_waitcnt lgkmcnt(0)
	v_mov_b32_e32 v96, v87
	v_mov_b32_e32 v98, v87
	v_mov_b32_e32 v40, v23
	v_mov_b32_e32 v56, v19
	v_mov_b32_e32 v58, v19
	s_mov_b32 s28, 0xbf763a35
	s_mov_b32 s12, 0xbe8c1d8e
	;; [unrolled: 1-line block ×5, first 2 shown]
	s_movk_i32 s1, 0x1000
	s_mov_b32 s0, 0x3f3d2fb0
	s_mov_b32 s6, 0xbf65296c
	;; [unrolled: 1-line block ×17, first 2 shown]
	s_waitcnt vmcnt(7)
	v_pk_mul_f32 v[88:89], v[88:89], v[28:29] op_sel_hi:[0,1]
	v_pk_mul_f32 v[74:75], v[74:75], v[26:27] op_sel_hi:[0,1]
	s_waitcnt vmcnt(6)
	v_pk_mul_f32 v[90:91], v[90:91], v[32:33] op_sel_hi:[0,1]
	v_pk_mul_f32 v[78:79], v[78:79], v[30:31] op_sel_hi:[0,1]
	s_waitcnt vmcnt(5)
	v_pk_mul_f32 v[92:93], v[92:93], v[50:51] op_sel_hi:[0,1]
	s_waitcnt vmcnt(4)
	v_pk_mul_f32 v[84:85], v[84:85], v[52:53] op_sel_hi:[0,1]
	s_waitcnt vmcnt(3)
	v_mov_b32_e32 v100, v67
	v_mov_b32_e32 v101, v66
	v_pk_mul_f32 v[8:9], v[8:9], v[66:67] op_sel_hi:[0,1]
	v_pk_fma_f32 v[36:37], v[36:37], v[28:29], v[88:89] op_sel:[0,0,1] op_sel_hi:[1,1,0]
	v_pk_fma_f32 v[28:29], v[38:39], v[28:29], v[88:89] op_sel:[0,0,1] op_sel_hi:[0,1,0] neg_lo:[1,0,0] neg_hi:[1,0,0]
	v_pk_fma_f32 v[38:39], v[24:25], v[26:27], v[74:75] op_sel:[0,0,1] op_sel_hi:[1,1,0]
	v_pk_fma_f32 v[24:25], v[24:25], v[26:27], v[74:75] op_sel:[0,0,1] op_sel_hi:[0,1,0] neg_lo:[1,0,0] neg_hi:[1,0,0]
	v_pk_fma_f32 v[26:27], v[42:43], v[32:33], v[90:91] op_sel:[0,0,1] op_sel_hi:[0,1,0] neg_lo:[1,0,0] neg_hi:[1,0,0]
	v_pk_fma_f32 v[42:43], v[22:23], v[30:31], v[78:79] op_sel:[0,0,1] op_sel_hi:[1,1,0]
	v_pk_fma_f32 v[22:23], v[22:23], v[30:31], v[78:79] op_sel:[0,0,1] op_sel_hi:[0,1,0] neg_lo:[1,0,0] neg_hi:[1,0,0]
	v_pk_fma_f32 v[44:45], v[44:45], v[50:51], v[92:93] op_sel:[0,0,1] op_sel_hi:[1,1,0]
	;; [unrolled: 2-line block ×3, first 2 shown]
	v_pk_fma_f32 v[18:19], v[18:19], v[52:53], v[84:85] op_sel:[0,0,1] op_sel_hi:[0,1,0] neg_lo:[1,0,0] neg_hi:[1,0,0]
	v_pk_fma_f32 v[52:53], v[96:97], v[100:101], v[8:9]
	v_pk_fma_f32 v[8:9], v[98:99], v[100:101], v[8:9] op_sel_hi:[0,1,1] neg_lo:[0,0,1] neg_hi:[0,0,1]
	v_mov_b32_e32 v8, v77
	v_pk_mul_f32 v[82:83], v[82:83], v[48:49] op_sel_hi:[0,1]
	v_pk_mul_f32 v[94:95], v[94:95], v[54:55] op_sel_hi:[0,1]
	s_waitcnt vmcnt(2)
	v_pk_mul_f32 v[66:67], v[16:17], v[60:61] op_sel_hi:[0,1]
	v_mov_b32_e32 v53, v9
	v_pk_mul_f32 v[8:9], v[8:9], v[62:63] op_sel_hi:[0,1]
	v_mov_b32_e32 v16, v17
	v_pk_fma_f32 v[40:41], v[40:41], v[32:33], v[90:91] op_sel:[0,0,1] op_sel_hi:[1,1,0]
	v_pk_fma_f32 v[46:47], v[20:21], v[48:49], v[82:83] op_sel:[0,0,1] op_sel_hi:[1,1,0]
	v_pk_fma_f32 v[20:21], v[20:21], v[48:49], v[82:83] op_sel:[0,0,1] op_sel_hi:[0,1,0] neg_lo:[1,0,0] neg_hi:[1,0,0]
	v_pk_fma_f32 v[48:49], v[56:57], v[54:55], v[94:95] op_sel:[0,0,1] op_sel_hi:[1,1,0]
	v_pk_fma_f32 v[32:33], v[58:59], v[54:55], v[94:95] op_sel:[0,0,1] op_sel_hi:[0,1,0] neg_lo:[1,0,0] neg_hi:[1,0,0]
	v_pk_fma_f32 v[58:59], v[76:77], v[60:61], v[66:67] op_sel:[0,1,0] op_sel_hi:[1,0,1]
	v_pk_fma_f32 v[54:55], v[76:77], v[60:61], v[66:67] op_sel:[0,1,0] op_sel_hi:[0,0,1] neg_lo:[0,0,1] neg_hi:[0,0,1]
	v_pk_fma_f32 v[60:61], v[16:17], v[62:63], v[8:9] op_sel:[0,0,1] op_sel_hi:[1,1,0]
	v_pk_fma_f32 v[8:9], v[16:17], v[62:63], v[8:9] op_sel:[0,0,1] op_sel_hi:[0,1,0] neg_lo:[1,0,0] neg_hi:[1,0,0]
	v_mov_b32_e32 v61, v9
	s_waitcnt vmcnt(1)
	v_pk_mul_f32 v[8:9], v[80:81], v[68:69] op_sel_hi:[0,1]
	v_pk_fma_f32 v[62:63], v[14:15], v[68:69], v[8:9] op_sel:[0,0,1] op_sel_hi:[1,1,0]
	v_pk_fma_f32 v[8:9], v[14:15], v[68:69], v[8:9] op_sel:[0,0,1] op_sel_hi:[0,1,0] neg_lo:[1,0,0] neg_hi:[1,0,0]
	v_mov_b32_e32 v8, v81
	v_mov_b32_e32 v63, v9
	v_pk_mul_f32 v[8:9], v[8:9], v[70:71] op_sel_hi:[0,1]
	v_mov_b32_e32 v14, v15
	v_mov_b32_e32 v59, v55
	v_pk_fma_f32 v[54:55], v[14:15], v[70:71], v[8:9] op_sel:[0,0,1] op_sel_hi:[1,1,0]
	v_pk_fma_f32 v[8:9], v[14:15], v[70:71], v[8:9] op_sel:[0,0,1] op_sel_hi:[0,1,0] neg_lo:[1,0,0] neg_hi:[1,0,0]
	v_mov_b32_e32 v55, v9
	v_pk_mul_f32 v[8:9], v[86:87], v[64:65] op_sel_hi:[0,1]
	v_pk_fma_f32 v[56:57], v[12:13], v[64:65], v[8:9] op_sel:[0,0,1] op_sel_hi:[1,1,0]
	v_pk_fma_f32 v[8:9], v[12:13], v[64:65], v[8:9] op_sel:[0,0,1] op_sel_hi:[0,1,0] neg_lo:[1,0,0] neg_hi:[1,0,0]
	v_mov_b32_e32 v8, v35
	v_mov_b32_e32 v57, v9
	s_waitcnt vmcnt(0)
	v_pk_mul_f32 v[8:9], v[8:9], v[2:3] op_sel_hi:[0,1]
	v_mov_b32_e32 v12, v7
	v_pk_fma_f32 v[64:65], v[12:13], v[2:3], v[8:9] op_sel:[0,0,1] op_sel_hi:[1,1,0]
	v_pk_fma_f32 v[2:3], v[12:13], v[2:3], v[8:9] op_sel:[0,0,1] op_sel_hi:[0,1,0] neg_lo:[1,0,0] neg_hi:[1,0,0]
	v_mov_b32_e32 v37, v29
	v_mov_b32_e32 v65, v3
	v_pk_mul_f32 v[2:3], v[72:73], v[4:5] op_sel_hi:[0,1]
	v_pk_fma_f32 v[66:67], v[10:11], v[4:5], v[2:3] op_sel:[0,0,1] op_sel_hi:[1,1,0]
	v_pk_fma_f32 v[2:3], v[10:11], v[4:5], v[2:3] op_sel:[0,0,1] op_sel_hi:[0,1,0] neg_lo:[1,0,0] neg_hi:[1,0,0]
	v_pk_add_f32 v[14:15], v[64:65], v[36:37] neg_lo:[0,1] neg_hi:[0,1]
	v_mov_b32_e32 v67, v3
	v_pk_add_f32 v[2:3], v[64:65], v[36:37]
	v_pk_mul_f32 v[68:69], v[14:15], s[28:29] op_sel_hi:[1,0]
	v_mov_b32_e32 v39, v25
	v_pk_fma_f32 v[70:71], v[2:3], s[12:13], v[68:69] op_sel:[0,0,1] op_sel_hi:[1,0,0]
	v_pk_fma_f32 v[68:69], v[2:3], s[12:13], v[68:69] op_sel:[0,0,1] op_sel_hi:[1,0,0] neg_lo:[0,0,1] neg_hi:[0,0,1]
	v_mov_b32_e32 v41, v27
	v_mov_b32_e32 v7, v34
	v_pk_add_f32 v[26:27], v[66:67], v[38:39] neg_lo:[0,1] neg_hi:[0,1]
	v_mov_b32_e32 v72, v70
	v_mov_b32_e32 v73, v69
	v_pk_add_f32 v[10:11], v[66:67], v[38:39]
	v_pk_add_f32 v[76:77], v[6:7], v[72:73]
	v_pk_mul_f32 v[72:73], v[26:27], s[30:31] op_sel_hi:[1,0]
	v_mov_b32_e32 v47, v21
	v_pk_fma_f32 v[74:75], v[10:11], s[10:11], v[72:73] op_sel:[0,0,1] op_sel_hi:[1,0,0]
	v_pk_fma_f32 v[72:73], v[10:11], s[10:11], v[72:73] op_sel:[0,0,1] op_sel_hi:[1,0,0] neg_lo:[0,0,1] neg_hi:[0,0,1]
	v_pk_add_f32 v[20:21], v[58:59], v[40:41] neg_lo:[0,1] neg_hi:[0,1]
	v_mov_b32_e32 v78, v74
	v_mov_b32_e32 v79, v73
	v_pk_add_f32 v[4:5], v[58:59], v[40:41]
	v_pk_add_f32 v[80:81], v[76:77], v[78:79]
	v_pk_mul_f32 v[78:79], v[20:21], s[24:25] op_sel_hi:[1,0]
	v_mov_b32_e32 v43, v23
	v_pk_fma_f32 v[76:77], v[4:5], s[0:1], v[78:79] op_sel:[0,0,1] op_sel_hi:[1,0,0]
	v_pk_fma_f32 v[78:79], v[4:5], s[0:1], v[78:79] op_sel:[0,0,1] op_sel_hi:[1,0,0] neg_lo:[0,0,1] neg_hi:[0,0,1]
	;; [unrolled: 9-line block ×3, first 2 shown]
	v_pk_add_f32 v[28:29], v[62:63], v[44:45] neg_lo:[0,1] neg_hi:[0,1]
	v_mov_b32_e32 v86, v80
	v_mov_b32_e32 v87, v83
	v_pk_add_f32 v[12:13], v[62:63], v[44:45]
	v_pk_add_f32 v[88:89], v[84:85], v[86:87]
	v_pk_mul_f32 v[86:87], v[28:29], s[20:21] op_sel_hi:[1,0]
	v_pk_add_f32 v[30:31], v[54:55], v[46:47] neg_lo:[0,1] neg_hi:[0,1]
	v_pk_fma_f32 v[84:85], v[12:13], s[18:19], v[86:87] op_sel:[0,0,1] op_sel_hi:[1,0,0]
	v_pk_fma_f32 v[86:87], v[12:13], s[18:19], v[86:87] op_sel:[0,0,1] op_sel_hi:[1,0,0] neg_lo:[0,0,1] neg_hi:[0,0,1]
	v_mov_b32_e32 v90, v84
	v_mov_b32_e32 v91, v87
	v_pk_add_f32 v[16:17], v[54:55], v[46:47]
	v_pk_add_f32 v[92:93], v[88:89], v[90:91]
	v_pk_mul_f32 v[90:91], v[30:31], s[46:47] op_sel_hi:[1,0]
	v_mov_b32_e32 v49, v33
	v_pk_fma_f32 v[88:89], v[16:17], s[14:15], v[90:91] op_sel:[0,0,1] op_sel_hi:[1,0,0]
	v_pk_fma_f32 v[90:91], v[16:17], s[14:15], v[90:91] op_sel:[0,0,1] op_sel_hi:[1,0,0] neg_lo:[0,0,1] neg_hi:[0,0,1]
	v_pk_add_f32 v[32:33], v[56:57], v[48:49] neg_lo:[0,1] neg_hi:[0,1]
	v_mov_b32_e32 v94, v88
	v_mov_b32_e32 v95, v91
	;; [unrolled: 1-line block ×3, first 2 shown]
	v_pk_add_f32 v[18:19], v[56:57], v[48:49]
	v_pk_add_f32 v[96:97], v[92:93], v[94:95]
	v_pk_mul_f32 v[94:95], v[32:33], s[16:17] op_sel_hi:[1,0]
	v_pk_add_f32 v[34:35], v[52:53], v[50:51] neg_lo:[0,1] neg_hi:[0,1]
	v_pk_fma_f32 v[92:93], v[18:19], s[2:3], v[94:95] op_sel:[0,0,1] op_sel_hi:[1,0,0]
	v_pk_fma_f32 v[94:95], v[18:19], s[2:3], v[94:95] op_sel:[0,0,1] op_sel_hi:[1,0,0] neg_lo:[0,0,1] neg_hi:[0,0,1]
	v_mov_b32_e32 v98, v92
	v_mov_b32_e32 v99, v95
	v_pk_add_f32 v[22:23], v[52:53], v[50:51]
	v_pk_add_f32 v[100:101], v[96:97], v[98:99]
	v_pk_mul_f32 v[96:97], v[34:35], s[26:27] op_sel_hi:[1,0]
	v_pk_mul_f32 v[104:105], v[26:27], s[22:23] op_sel_hi:[1,0]
	v_pk_fma_f32 v[98:99], v[22:23], s[8:9], v[96:97] op_sel:[0,0,1] op_sel_hi:[1,0,0]
	v_pk_fma_f32 v[96:97], v[22:23], s[8:9], v[96:97] op_sel:[0,0,1] op_sel_hi:[1,0,0] neg_lo:[0,0,1] neg_hi:[0,0,1]
	v_mov_b32_e32 v102, v98
	v_mov_b32_e32 v103, v97
	v_pk_add_f32 v[100:101], v[100:101], v[102:103]
	v_add_co_u32_e32 v102, vcc, s1, v0
	v_pk_mul_f32 v[106:107], v[20:21], s[16:17] op_sel_hi:[1,0]
	s_nop 0
	v_addc_co_u32_e32 v103, vcc, 0, v1, vcc
	global_store_dwordx2 v[102:103], v[100:101], off offset:664
	v_pk_mul_f32 v[100:101], v[14:15], s[26:27] op_sel_hi:[1,0]
	v_pk_fma_f32 v[128:129], v[10:11], s[12:13], v[104:105] op_sel:[0,0,1] op_sel_hi:[1,0,0]
	v_pk_fma_f32 v[124:125], v[2:3], s[8:9], v[100:101] op_sel:[0,0,1] op_sel_hi:[1,0,0]
	v_pk_fma_f32 v[122:123], v[2:3], s[8:9], v[100:101] op_sel:[0,0,1] op_sel_hi:[1,0,0] neg_lo:[0,0,1] neg_hi:[0,0,1]
	v_mov_b32_e32 v100, v124
	v_mov_b32_e32 v101, v123
	v_pk_fma_f32 v[126:127], v[10:11], s[12:13], v[104:105] op_sel:[0,0,1] op_sel_hi:[1,0,0] neg_lo:[0,0,1] neg_hi:[0,0,1]
	v_pk_add_f32 v[100:101], v[6:7], v[100:101]
	v_mov_b32_e32 v104, v128
	v_mov_b32_e32 v105, v127
	v_pk_fma_f32 v[130:131], v[4:5], s[2:3], v[106:107] op_sel:[0,0,1] op_sel_hi:[1,0,0]
	v_pk_fma_f32 v[132:133], v[4:5], s[2:3], v[106:107] op_sel:[0,0,1] op_sel_hi:[1,0,0] neg_lo:[0,0,1] neg_hi:[0,0,1]
	v_pk_add_f32 v[100:101], v[100:101], v[104:105]
	v_mov_b32_e32 v104, v130
	v_mov_b32_e32 v105, v133
	v_pk_add_f32 v[100:101], v[100:101], v[104:105]
	v_pk_mul_f32 v[104:105], v[24:25], s[34:35] op_sel_hi:[1,0]
	v_pk_add_f32 v[64:65], v[6:7], v[64:65]
	v_pk_fma_f32 v[134:135], v[8:9], s[10:11], v[104:105] op_sel:[0,0,1] op_sel_hi:[1,0,0]
	v_pk_fma_f32 v[136:137], v[8:9], s[10:11], v[104:105] op_sel:[0,0,1] op_sel_hi:[1,0,0] neg_lo:[0,0,1] neg_hi:[0,0,1]
	v_mov_b32_e32 v104, v134
	v_mov_b32_e32 v105, v137
	v_pk_add_f32 v[100:101], v[100:101], v[104:105]
	v_pk_mul_f32 v[104:105], v[28:29], s[46:47] op_sel_hi:[1,0]
	v_pk_add_f32 v[64:65], v[64:65], v[66:67]
	v_pk_fma_f32 v[138:139], v[12:13], s[14:15], v[104:105] op_sel:[0,0,1] op_sel_hi:[1,0,0]
	v_pk_fma_f32 v[140:141], v[12:13], s[14:15], v[104:105] op_sel:[0,0,1] op_sel_hi:[1,0,0] neg_lo:[0,0,1] neg_hi:[0,0,1]
	;; [unrolled: 7-line block ×4, first 2 shown]
	v_mov_b32_e32 v104, v146
	v_mov_b32_e32 v105, v149
	v_pk_add_f32 v[100:101], v[100:101], v[104:105]
	v_pk_mul_f32 v[104:105], v[34:35], s[42:43] op_sel_hi:[1,0]
	v_pk_mul_f32 v[60:61], v[14:15], s[16:17] op_sel_hi:[1,0]
	v_pk_fma_f32 v[150:151], v[22:23], s[4:5], v[104:105] op_sel:[0,0,1] op_sel_hi:[1,0,0]
	v_pk_fma_f32 v[152:153], v[22:23], s[4:5], v[104:105] op_sel:[0,0,1] op_sel_hi:[1,0,0] neg_lo:[0,0,1] neg_hi:[0,0,1]
	v_mov_b32_e32 v104, v150
	v_mov_b32_e32 v105, v153
	v_pk_add_f32 v[100:101], v[100:101], v[104:105]
	global_store_dwordx2 v[102:103], v[100:101], off offset:1616
	v_pk_mul_f32 v[100:101], v[14:15], s[34:35] op_sel_hi:[1,0]
	v_pk_mul_f32 v[104:105], v[26:27], s[42:43] op_sel_hi:[1,0]
	v_pk_fma_f32 v[166:167], v[2:3], s[10:11], v[100:101] op_sel:[0,0,1] op_sel_hi:[1,0,0]
	v_pk_fma_f32 v[164:165], v[2:3], s[10:11], v[100:101] op_sel:[0,0,1] op_sel_hi:[1,0,0] neg_lo:[0,0,1] neg_hi:[0,0,1]
	v_mov_b32_e32 v100, v166
	v_mov_b32_e32 v101, v165
	v_pk_fma_f32 v[170:171], v[10:11], s[4:5], v[104:105] op_sel:[0,0,1] op_sel_hi:[1,0,0]
	v_pk_fma_f32 v[168:169], v[10:11], s[4:5], v[104:105] op_sel:[0,0,1] op_sel_hi:[1,0,0] neg_lo:[0,0,1] neg_hi:[0,0,1]
	v_pk_add_f32 v[100:101], v[6:7], v[100:101]
	v_mov_b32_e32 v104, v170
	v_mov_b32_e32 v105, v169
	v_pk_add_f32 v[100:101], v[100:101], v[104:105]
	v_pk_mul_f32 v[104:105], v[20:21], s[38:39] op_sel_hi:[1,0]
	v_pk_add_f32 v[154:155], v[58:59], v[62:63]
	v_pk_fma_f32 v[172:173], v[4:5], s[14:15], v[104:105] op_sel:[0,0,1] op_sel_hi:[1,0,0]
	v_pk_fma_f32 v[174:175], v[4:5], s[14:15], v[104:105] op_sel:[0,0,1] op_sel_hi:[1,0,0] neg_lo:[0,0,1] neg_hi:[0,0,1]
	v_mov_b32_e32 v104, v172
	v_mov_b32_e32 v105, v175
	v_pk_add_f32 v[100:101], v[100:101], v[104:105]
	v_pk_mul_f32 v[104:105], v[24:25], s[36:37] op_sel_hi:[1,0]
	v_pk_fma_f32 v[58:59], v[2:3], s[2:3], v[60:61] op_sel:[0,0,1] op_sel_hi:[1,0,0]
	v_pk_fma_f32 v[176:177], v[8:9], s[8:9], v[104:105] op_sel:[0,0,1] op_sel_hi:[1,0,0]
	v_pk_fma_f32 v[178:179], v[8:9], s[8:9], v[104:105] op_sel:[0,0,1] op_sel_hi:[1,0,0] neg_lo:[0,0,1] neg_hi:[0,0,1]
	v_mov_b32_e32 v104, v176
	v_mov_b32_e32 v105, v179
	v_pk_add_f32 v[100:101], v[100:101], v[104:105]
	v_pk_mul_f32 v[104:105], v[28:29], s[16:17] op_sel_hi:[1,0]
	v_pk_fma_f32 v[60:61], v[2:3], s[2:3], v[60:61] op_sel:[0,0,1] op_sel_hi:[1,0,0] neg_lo:[0,0,1] neg_hi:[0,0,1]
	v_pk_fma_f32 v[180:181], v[12:13], s[2:3], v[104:105] op_sel:[0,0,1] op_sel_hi:[1,0,0]
	v_pk_fma_f32 v[182:183], v[12:13], s[2:3], v[104:105] op_sel:[0,0,1] op_sel_hi:[1,0,0] neg_lo:[0,0,1] neg_hi:[0,0,1]
	v_mov_b32_e32 v104, v180
	v_mov_b32_e32 v105, v183
	v_pk_add_f32 v[100:101], v[100:101], v[104:105]
	v_pk_mul_f32 v[104:105], v[30:31], s[20:21] op_sel_hi:[1,0]
	v_mov_b32_e32 v62, v58
	v_pk_fma_f32 v[184:185], v[16:17], s[18:19], v[104:105] op_sel:[0,0,1] op_sel_hi:[1,0,0]
	v_pk_fma_f32 v[186:187], v[16:17], s[18:19], v[104:105] op_sel:[0,0,1] op_sel_hi:[1,0,0] neg_lo:[0,0,1] neg_hi:[0,0,1]
	v_mov_b32_e32 v104, v184
	v_mov_b32_e32 v105, v187
	v_pk_add_f32 v[100:101], v[100:101], v[104:105]
	v_pk_mul_f32 v[104:105], v[32:33], s[24:25] op_sel_hi:[1,0]
	v_mov_b32_e32 v63, v61
	v_pk_fma_f32 v[188:189], v[18:19], s[0:1], v[104:105] op_sel:[0,0,1] op_sel_hi:[1,0,0]
	v_pk_fma_f32 v[190:191], v[18:19], s[0:1], v[104:105] op_sel:[0,0,1] op_sel_hi:[1,0,0] neg_lo:[0,0,1] neg_hi:[0,0,1]
	v_mov_b32_e32 v104, v188
	v_mov_b32_e32 v105, v191
	v_pk_add_f32 v[100:101], v[100:101], v[104:105]
	v_pk_mul_f32 v[104:105], v[34:35], s[28:29] op_sel_hi:[1,0]
	v_pk_mul_f32 v[64:65], v[26:27], s[44:45] op_sel_hi:[1,0]
	v_pk_fma_f32 v[192:193], v[22:23], s[12:13], v[104:105] op_sel:[0,0,1] op_sel_hi:[1,0,0]
	v_pk_fma_f32 v[194:195], v[22:23], s[12:13], v[104:105] op_sel:[0,0,1] op_sel_hi:[1,0,0] neg_lo:[0,0,1] neg_hi:[0,0,1]
	v_mov_b32_e32 v104, v192
	v_mov_b32_e32 v105, v195
	v_pk_add_f32 v[100:101], v[100:101], v[104:105]
	global_store_dwordx2 v[102:103], v[100:101], off offset:2568
	v_pk_mul_f32 v[100:101], v[14:15], s[20:21] op_sel_hi:[1,0]
	v_pk_mul_f32 v[104:105], v[26:27], s[40:41] op_sel_hi:[1,0]
	v_pk_fma_f32 v[196:197], v[2:3], s[18:19], v[100:101] op_sel:[0,0,1] op_sel_hi:[1,0,0]
	v_pk_fma_f32 v[198:199], v[2:3], s[18:19], v[100:101] op_sel:[0,0,1] op_sel_hi:[1,0,0] neg_lo:[0,0,1] neg_hi:[0,0,1]
	v_mov_b32_e32 v100, v196
	v_mov_b32_e32 v101, v199
	v_pk_fma_f32 v[200:201], v[10:11], s[2:3], v[104:105] op_sel:[0,0,1] op_sel_hi:[1,0,0]
	v_pk_fma_f32 v[202:203], v[10:11], s[2:3], v[104:105] op_sel:[0,0,1] op_sel_hi:[1,0,0] neg_lo:[0,0,1] neg_hi:[0,0,1]
	v_pk_add_f32 v[100:101], v[6:7], v[100:101]
	v_mov_b32_e32 v104, v200
	v_mov_b32_e32 v105, v203
	v_pk_add_f32 v[100:101], v[100:101], v[104:105]
	v_pk_mul_f32 v[104:105], v[20:21], s[34:35] op_sel_hi:[1,0]
	v_pk_add_f32 v[66:67], v[6:7], v[62:63]
	v_pk_fma_f32 v[204:205], v[4:5], s[10:11], v[104:105] op_sel:[0,0,1] op_sel_hi:[1,0,0]
	v_pk_fma_f32 v[206:207], v[4:5], s[10:11], v[104:105] op_sel:[0,0,1] op_sel_hi:[1,0,0] neg_lo:[0,0,1] neg_hi:[0,0,1]
	v_mov_b32_e32 v104, v204
	v_mov_b32_e32 v105, v207
	v_pk_add_f32 v[100:101], v[100:101], v[104:105]
	v_pk_mul_f32 v[104:105], v[24:25], s[24:25] op_sel_hi:[1,0]
	v_pk_fma_f32 v[62:63], v[10:11], s[0:1], v[64:65] op_sel:[0,0,1] op_sel_hi:[1,0,0]
	v_pk_fma_f32 v[208:209], v[8:9], s[0:1], v[104:105] op_sel:[0,0,1] op_sel_hi:[1,0,0]
	v_pk_fma_f32 v[210:211], v[8:9], s[0:1], v[104:105] op_sel:[0,0,1] op_sel_hi:[1,0,0] neg_lo:[0,0,1] neg_hi:[0,0,1]
	v_mov_b32_e32 v104, v208
	v_mov_b32_e32 v105, v211
	v_pk_add_f32 v[100:101], v[100:101], v[104:105]
	v_pk_mul_f32 v[104:105], v[28:29], s[26:27] op_sel_hi:[1,0]
	v_pk_fma_f32 v[64:65], v[10:11], s[0:1], v[64:65] op_sel:[0,0,1] op_sel_hi:[1,0,0] neg_lo:[0,0,1] neg_hi:[0,0,1]
	v_pk_fma_f32 v[212:213], v[12:13], s[8:9], v[104:105] op_sel:[0,0,1] op_sel_hi:[1,0,0]
	v_pk_fma_f32 v[214:215], v[12:13], s[8:9], v[104:105] op_sel:[0,0,1] op_sel_hi:[1,0,0] neg_lo:[0,0,1] neg_hi:[0,0,1]
	v_mov_b32_e32 v104, v212
	v_mov_b32_e32 v105, v215
	v_pk_add_f32 v[100:101], v[100:101], v[104:105]
	v_pk_mul_f32 v[104:105], v[30:31], s[42:43] op_sel_hi:[1,0]
	v_pk_add_f32 v[54:55], v[154:155], v[54:55]
	v_pk_fma_f32 v[216:217], v[16:17], s[4:5], v[104:105] op_sel:[0,0,1] op_sel_hi:[1,0,0]
	v_pk_fma_f32 v[218:219], v[16:17], s[4:5], v[104:105] op_sel:[0,0,1] op_sel_hi:[1,0,0] neg_lo:[0,0,1] neg_hi:[0,0,1]
	v_mov_b32_e32 v104, v216
	v_mov_b32_e32 v105, v219
	v_pk_add_f32 v[100:101], v[100:101], v[104:105]
	v_pk_mul_f32 v[104:105], v[32:33], s[28:29] op_sel_hi:[1,0]
	v_pk_add_f32 v[54:55], v[54:55], v[56:57]
	;; [unrolled: 7-line block ×3, first 2 shown]
	v_pk_fma_f32 v[224:225], v[22:23], s[14:15], v[104:105] op_sel:[0,0,1] op_sel_hi:[1,0,0]
	v_pk_fma_f32 v[226:227], v[22:23], s[14:15], v[104:105] op_sel:[0,0,1] op_sel_hi:[1,0,0] neg_lo:[0,0,1] neg_hi:[0,0,1]
	v_mov_b32_e32 v104, v224
	v_mov_b32_e32 v105, v227
	v_pk_add_f32 v[100:101], v[100:101], v[104:105]
	global_store_dwordx2 v[102:103], v[100:101], off offset:3520
	v_mov_b32_e32 v100, v62
	v_mov_b32_e32 v101, v65
	v_pk_add_f32 v[102:103], v[66:67], v[100:101]
	v_pk_mul_f32 v[100:101], v[20:21], s[6:7] op_sel_hi:[1,0]
	v_pk_add_f32 v[50:51], v[52:53], v[50:51]
	v_pk_fma_f32 v[66:67], v[4:5], s[4:5], v[100:101] op_sel:[0,0,1] op_sel_hi:[1,0,0]
	v_pk_fma_f32 v[100:101], v[4:5], s[4:5], v[100:101] op_sel:[0,0,1] op_sel_hi:[1,0,0] neg_lo:[0,0,1] neg_hi:[0,0,1]
	v_mov_b32_e32 v104, v66
	v_mov_b32_e32 v105, v101
	v_pk_add_f32 v[106:107], v[102:103], v[104:105]
	v_pk_mul_f32 v[104:105], v[24:25], s[38:39] op_sel_hi:[1,0]
	v_pk_add_f32 v[48:49], v[48:49], v[50:51]
	v_pk_fma_f32 v[102:103], v[8:9], s[14:15], v[104:105] op_sel:[0,0,1] op_sel_hi:[1,0,0]
	v_pk_fma_f32 v[104:105], v[8:9], s[14:15], v[104:105] op_sel:[0,0,1] op_sel_hi:[1,0,0] neg_lo:[0,0,1] neg_hi:[0,0,1]
	;; [unrolled: 7-line block ×6, first 2 shown]
	v_pk_add_f32 v[38:39], v[38:39], v[40:41]
	v_mov_b32_e32 v158, v118
	v_mov_b32_e32 v159, v121
	v_pk_add_f32 v[36:37], v[36:37], v[38:39]
	v_pk_mul_f32 v[38:39], v[14:15], s[44:45] op_sel_hi:[1,0]
	v_pk_add_f32 v[156:157], v[156:157], v[158:159]
	global_store_dwordx2 v[0:1], v[36:37], off
	global_store_dwordx2 v[0:1], v[156:157], off offset:952
	v_pk_fma_f32 v[36:37], v[2:3], s[0:1], v[38:39] op_sel:[0,0,1] op_sel_hi:[1,0,0]
	v_pk_fma_f32 v[38:39], v[2:3], s[0:1], v[38:39] op_sel:[0,0,1] op_sel_hi:[1,0,0] neg_lo:[0,0,1] neg_hi:[0,0,1]
	v_mov_b32_e32 v40, v36
	v_mov_b32_e32 v41, v39
	v_pk_mul_f32 v[42:43], v[26:27], s[38:39] op_sel_hi:[1,0]
	v_pk_add_f32 v[44:45], v[6:7], v[40:41]
	v_pk_fma_f32 v[40:41], v[10:11], s[14:15], v[42:43] op_sel:[0,0,1] op_sel_hi:[1,0,0]
	v_pk_fma_f32 v[42:43], v[10:11], s[14:15], v[42:43] op_sel:[0,0,1] op_sel_hi:[1,0,0] neg_lo:[0,0,1] neg_hi:[0,0,1]
	v_mov_b32_e32 v46, v40
	v_mov_b32_e32 v47, v43
	v_pk_add_f32 v[48:49], v[44:45], v[46:47]
	v_pk_mul_f32 v[46:47], v[20:21], s[26:27] op_sel_hi:[1,0]
	v_mov_b32_e32 v69, v71
	v_pk_fma_f32 v[44:45], v[4:5], s[8:9], v[46:47] op_sel:[0,0,1] op_sel_hi:[1,0,0]
	v_pk_fma_f32 v[46:47], v[4:5], s[8:9], v[46:47] op_sel:[0,0,1] op_sel_hi:[1,0,0] neg_lo:[0,0,1] neg_hi:[0,0,1]
	v_mov_b32_e32 v50, v44
	v_mov_b32_e32 v51, v47
	v_pk_add_f32 v[52:53], v[48:49], v[50:51]
	v_pk_mul_f32 v[50:51], v[24:25], s[20:21] op_sel_hi:[1,0]
	v_mov_b32_e32 v73, v75
	v_pk_fma_f32 v[48:49], v[8:9], s[18:19], v[50:51] op_sel:[0,0,1] op_sel_hi:[1,0,0]
	v_pk_fma_f32 v[50:51], v[8:9], s[18:19], v[50:51] op_sel:[0,0,1] op_sel_hi:[1,0,0] neg_lo:[0,0,1] neg_hi:[0,0,1]
	v_mov_b32_e32 v54, v48
	v_mov_b32_e32 v55, v51
	v_pk_add_f32 v[56:57], v[52:53], v[54:55]
	v_pk_mul_f32 v[54:55], v[28:29], s[30:31] op_sel_hi:[1,0]
	v_pk_add_f32 v[68:69], v[6:7], v[68:69]
	v_pk_fma_f32 v[52:53], v[12:13], s[10:11], v[54:55] op_sel:[0,0,1] op_sel_hi:[1,0,0]
	v_pk_fma_f32 v[54:55], v[12:13], s[10:11], v[54:55] op_sel:[0,0,1] op_sel_hi:[1,0,0] neg_lo:[0,0,1] neg_hi:[0,0,1]
	v_mov_b32_e32 v154, v52
	v_mov_b32_e32 v155, v55
	v_pk_add_f32 v[156:157], v[56:57], v[154:155]
	v_pk_mul_f32 v[154:155], v[30:31], s[22:23] op_sel_hi:[1,0]
	v_pk_add_f32 v[68:69], v[68:69], v[72:73]
	v_pk_fma_f32 v[56:57], v[16:17], s[12:13], v[154:155] op_sel:[0,0,1] op_sel_hi:[1,0,0]
	v_pk_fma_f32 v[154:155], v[16:17], s[12:13], v[154:155] op_sel:[0,0,1] op_sel_hi:[1,0,0] neg_lo:[0,0,1] neg_hi:[0,0,1]
	v_mov_b32_e32 v158, v56
	v_mov_b32_e32 v159, v155
	v_pk_add_f32 v[160:161], v[156:157], v[158:159]
	v_pk_mul_f32 v[158:159], v[32:33], s[42:43] op_sel_hi:[1,0]
	v_mov_b32_e32 v79, v77
	v_pk_fma_f32 v[156:157], v[18:19], s[4:5], v[158:159] op_sel:[0,0,1] op_sel_hi:[1,0,0]
	v_pk_fma_f32 v[158:159], v[18:19], s[4:5], v[158:159] op_sel:[0,0,1] op_sel_hi:[1,0,0] neg_lo:[0,0,1] neg_hi:[0,0,1]
	v_mov_b32_e32 v162, v156
	v_mov_b32_e32 v163, v159
	v_pk_add_f32 v[228:229], v[160:161], v[162:163]
	v_pk_mul_f32 v[162:163], v[34:35], s[40:41] op_sel_hi:[1,0]
	v_pk_add_f32 v[68:69], v[68:69], v[78:79]
	v_pk_fma_f32 v[160:161], v[22:23], s[2:3], v[162:163] op_sel:[0,0,1] op_sel_hi:[1,0,0]
	v_pk_fma_f32 v[162:163], v[22:23], s[2:3], v[162:163] op_sel:[0,0,1] op_sel_hi:[1,0,0] neg_lo:[0,0,1] neg_hi:[0,0,1]
	v_mov_b32_e32 v83, v81
	v_mov_b32_e32 v230, v160
	;; [unrolled: 1-line block ×3, first 2 shown]
	v_pk_add_f32 v[68:69], v[68:69], v[82:83]
	v_mov_b32_e32 v87, v85
	v_pk_add_f32 v[228:229], v[228:229], v[230:231]
	v_pk_add_f32 v[68:69], v[68:69], v[86:87]
	v_mov_b32_e32 v91, v89
	global_store_dwordx2 v[0:1], v[228:229], off offset:1904
	v_pk_mul_f32 v[228:229], v[14:15], s[6:7] op_sel_hi:[1,0]
	v_mov_b32_e32 v199, v197
	s_movk_i32 s1, 0x2000
	v_pk_add_f32 v[68:69], v[68:69], v[90:91]
	v_mov_b32_e32 v95, v93
	v_pk_fma_f32 v[230:231], v[2:3], s[4:5], v[228:229] op_sel:[0,0,1] op_sel_hi:[1,0,0]
	v_pk_fma_f32 v[228:229], v[2:3], s[4:5], v[228:229] op_sel:[0,0,1] op_sel_hi:[1,0,0] neg_lo:[0,0,1] neg_hi:[0,0,1]
	v_pk_mul_f32 v[234:235], v[26:27], s[26:27] op_sel_hi:[1,0]
	v_pk_add_f32 v[196:197], v[6:7], v[198:199]
	v_add_co_u32_e32 v198, vcc, s1, v0
	v_pk_add_f32 v[68:69], v[68:69], v[94:95]
	v_mov_b32_e32 v97, v99
	s_mov_b32 s26, 0x3e3c28d5
	v_mov_b32_e32 v232, v230
	v_mov_b32_e32 v233, v229
	v_pk_fma_f32 v[236:237], v[10:11], s[8:9], v[234:235] op_sel:[0,0,1] op_sel_hi:[1,0,0]
	v_pk_fma_f32 v[234:235], v[10:11], s[8:9], v[234:235] op_sel:[0,0,1] op_sel_hi:[1,0,0] neg_lo:[0,0,1] neg_hi:[0,0,1]
	v_addc_co_u32_e32 v199, vcc, 0, v1, vcc
	v_pk_add_f32 v[68:69], v[68:69], v[96:97]
	v_pk_mul_f32 v[70:71], v[20:21], s[26:27] op_sel_hi:[1,0]
	v_pk_add_f32 v[232:233], v[6:7], v[232:233]
	v_mov_b32_e32 v238, v236
	v_mov_b32_e32 v239, v235
	global_store_dwordx2 v[198:199], v[68:69], off offset:3232
	v_pk_fma_f32 v[68:69], v[4:5], s[18:19], v[70:71] op_sel:[0,0,1] op_sel_hi:[1,0,0]
	v_pk_fma_f32 v[70:71], v[4:5], s[18:19], v[70:71] op_sel:[0,0,1] op_sel_hi:[1,0,0] neg_lo:[0,0,1] neg_hi:[0,0,1]
	v_pk_mul_f32 v[74:75], v[24:25], s[22:23] op_sel_hi:[1,0]
	v_pk_add_f32 v[232:233], v[232:233], v[238:239]
	v_mov_b32_e32 v72, v68
	v_mov_b32_e32 v73, v71
	v_pk_fma_f32 v[76:77], v[8:9], s[12:13], v[74:75] op_sel:[0,0,1] op_sel_hi:[1,0,0]
	v_pk_fma_f32 v[74:75], v[8:9], s[12:13], v[74:75] op_sel:[0,0,1] op_sel_hi:[1,0,0] neg_lo:[0,0,1] neg_hi:[0,0,1]
	v_pk_add_f32 v[72:73], v[232:233], v[72:73]
	v_mov_b32_e32 v78, v76
	v_mov_b32_e32 v79, v75
	v_pk_add_f32 v[72:73], v[72:73], v[78:79]
	v_pk_mul_f32 v[78:79], v[28:29], s[24:25] op_sel_hi:[1,0]
	v_pk_mul_f32 v[14:15], v[14:15], s[38:39] op_sel_hi:[1,0]
	v_pk_fma_f32 v[80:81], v[12:13], s[0:1], v[78:79] op_sel:[0,0,1] op_sel_hi:[1,0,0]
	v_pk_fma_f32 v[78:79], v[12:13], s[0:1], v[78:79] op_sel:[0,0,1] op_sel_hi:[1,0,0] neg_lo:[0,0,1] neg_hi:[0,0,1]
	v_mov_b32_e32 v82, v80
	v_mov_b32_e32 v83, v79
	v_pk_add_f32 v[72:73], v[72:73], v[82:83]
	v_pk_mul_f32 v[82:83], v[30:31], s[16:17] op_sel_hi:[1,0]
	v_pk_mul_f32 v[20:21], v[20:21], s[22:23] op_sel_hi:[1,0]
	v_pk_fma_f32 v[84:85], v[16:17], s[2:3], v[82:83] op_sel:[0,0,1] op_sel_hi:[1,0,0]
	v_pk_fma_f32 v[82:83], v[16:17], s[2:3], v[82:83] op_sel:[0,0,1] op_sel_hi:[1,0,0] neg_lo:[0,0,1] neg_hi:[0,0,1]
	v_mov_b32_e32 v86, v84
	v_mov_b32_e32 v87, v83
	v_pk_add_f32 v[72:73], v[72:73], v[86:87]
	v_pk_mul_f32 v[86:87], v[32:33], s[38:39] op_sel_hi:[1,0]
	v_mov_b32_e32 v229, v231
	v_pk_fma_f32 v[88:89], v[18:19], s[14:15], v[86:87] op_sel:[0,0,1] op_sel_hi:[1,0,0]
	v_pk_fma_f32 v[86:87], v[18:19], s[14:15], v[86:87] op_sel:[0,0,1] op_sel_hi:[1,0,0] neg_lo:[0,0,1] neg_hi:[0,0,1]
	v_mov_b32_e32 v90, v88
	v_mov_b32_e32 v91, v87
	v_pk_add_f32 v[72:73], v[72:73], v[90:91]
	v_pk_mul_f32 v[90:91], v[34:35], s[34:35] op_sel_hi:[1,0]
	v_mov_b32_e32 v235, v237
	v_pk_fma_f32 v[92:93], v[22:23], s[10:11], v[90:91] op_sel:[0,0,1] op_sel_hi:[1,0,0]
	v_pk_fma_f32 v[90:91], v[22:23], s[10:11], v[90:91] op_sel:[0,0,1] op_sel_hi:[1,0,0] neg_lo:[0,0,1] neg_hi:[0,0,1]
	v_mov_b32_e32 v94, v92
	v_mov_b32_e32 v95, v91
	v_pk_add_f32 v[72:73], v[72:73], v[94:95]
	global_store_dwordx2 v[0:1], v[72:73], off offset:2856
	v_pk_fma_f32 v[72:73], v[2:3], s[14:15], v[14:15] op_sel:[0,0,1] op_sel_hi:[1,0,0]
	v_pk_fma_f32 v[2:3], v[2:3], s[14:15], v[14:15] op_sel:[0,0,1] op_sel_hi:[1,0,0] neg_lo:[0,0,1] neg_hi:[0,0,1]
	v_pk_mul_f32 v[14:15], v[26:27], s[20:21] op_sel_hi:[1,0]
	v_mov_b32_e32 v71, v69
	v_pk_fma_f32 v[26:27], v[10:11], s[18:19], v[14:15] op_sel:[0,0,1] op_sel_hi:[1,0,0]
	v_pk_fma_f32 v[10:11], v[10:11], s[18:19], v[14:15] op_sel:[0,0,1] op_sel_hi:[1,0,0] neg_lo:[0,0,1] neg_hi:[0,0,1]
	v_mov_b32_e32 v14, v72
	v_mov_b32_e32 v15, v3
	v_pk_add_f32 v[14:15], v[6:7], v[14:15]
	v_mov_b32_e32 v94, v26
	v_mov_b32_e32 v95, v11
	v_pk_add_f32 v[14:15], v[14:15], v[94:95]
	v_pk_fma_f32 v[94:95], v[4:5], s[12:13], v[20:21] op_sel:[0,0,1] op_sel_hi:[1,0,0]
	v_pk_fma_f32 v[4:5], v[4:5], s[12:13], v[20:21] op_sel:[0,0,1] op_sel_hi:[1,0,0] neg_lo:[0,0,1] neg_hi:[0,0,1]
	v_mov_b32_e32 v20, v94
	v_mov_b32_e32 v21, v5
	v_pk_add_f32 v[14:15], v[14:15], v[20:21]
	v_pk_mul_f32 v[20:21], v[24:25], s[40:41] op_sel_hi:[1,0]
	v_mov_b32_e32 v3, v73
	v_pk_fma_f32 v[24:25], v[8:9], s[2:3], v[20:21] op_sel:[0,0,1] op_sel_hi:[1,0,0]
	v_pk_fma_f32 v[8:9], v[8:9], s[2:3], v[20:21] op_sel:[0,0,1] op_sel_hi:[1,0,0] neg_lo:[0,0,1] neg_hi:[0,0,1]
	v_mov_b32_e32 v20, v24
	v_mov_b32_e32 v21, v9
	v_pk_add_f32 v[14:15], v[14:15], v[20:21]
	v_pk_mul_f32 v[20:21], v[28:29], s[6:7] op_sel_hi:[1,0]
	v_mov_b32_e32 v11, v27
	v_pk_fma_f32 v[28:29], v[12:13], s[4:5], v[20:21] op_sel:[0,0,1] op_sel_hi:[1,0,0]
	v_pk_fma_f32 v[12:13], v[12:13], s[4:5], v[20:21] op_sel:[0,0,1] op_sel_hi:[1,0,0] neg_lo:[0,0,1] neg_hi:[0,0,1]
	v_mov_b32_e32 v20, v28
	v_mov_b32_e32 v21, v13
	v_pk_add_f32 v[14:15], v[14:15], v[20:21]
	v_pk_mul_f32 v[20:21], v[30:31], s[34:35] op_sel_hi:[1,0]
	v_pk_add_f32 v[2:3], v[6:7], v[2:3]
	v_pk_fma_f32 v[30:31], v[16:17], s[10:11], v[20:21] op_sel:[0,0,1] op_sel_hi:[1,0,0]
	v_pk_fma_f32 v[16:17], v[16:17], s[10:11], v[20:21] op_sel:[0,0,1] op_sel_hi:[1,0,0] neg_lo:[0,0,1] neg_hi:[0,0,1]
	v_mov_b32_e32 v20, v30
	v_mov_b32_e32 v21, v17
	v_pk_add_f32 v[14:15], v[14:15], v[20:21]
	v_pk_mul_f32 v[20:21], v[32:33], s[36:37] op_sel_hi:[1,0]
	v_pk_add_f32 v[2:3], v[2:3], v[10:11]
	v_pk_fma_f32 v[32:33], v[18:19], s[8:9], v[20:21] op_sel:[0,0,1] op_sel_hi:[1,0,0]
	v_pk_fma_f32 v[18:19], v[18:19], s[8:9], v[20:21] op_sel:[0,0,1] op_sel_hi:[1,0,0] neg_lo:[0,0,1] neg_hi:[0,0,1]
	v_mov_b32_e32 v20, v32
	v_mov_b32_e32 v21, v19
	;; [unrolled: 1-line block ×3, first 2 shown]
	v_pk_add_f32 v[14:15], v[14:15], v[20:21]
	v_pk_mul_f32 v[20:21], v[34:35], s[24:25] op_sel_hi:[1,0]
	v_pk_add_f32 v[2:3], v[2:3], v[4:5]
	v_mov_b32_e32 v9, v25
	v_pk_fma_f32 v[34:35], v[22:23], s[0:1], v[20:21] op_sel:[0,0,1] op_sel_hi:[1,0,0]
	v_pk_fma_f32 v[20:21], v[22:23], s[0:1], v[20:21] op_sel:[0,0,1] op_sel_hi:[1,0,0] neg_lo:[0,0,1] neg_hi:[0,0,1]
	v_pk_add_f32 v[2:3], v[2:3], v[8:9]
	v_mov_b32_e32 v13, v29
	v_mov_b32_e32 v22, v34
	;; [unrolled: 1-line block ×3, first 2 shown]
	v_pk_add_f32 v[2:3], v[2:3], v[12:13]
	v_mov_b32_e32 v17, v31
	v_pk_add_f32 v[14:15], v[14:15], v[22:23]
	v_pk_add_f32 v[2:3], v[2:3], v[16:17]
	v_mov_b32_e32 v19, v33
	s_movk_i32 s0, 0x3000
	global_store_dwordx2 v[0:1], v[14:15], off offset:3808
	v_pk_add_f32 v[2:3], v[2:3], v[18:19]
	v_mov_b32_e32 v21, v35
	v_add_co_u32_e32 v0, vcc, s0, v0
	v_pk_add_f32 v[2:3], v[2:3], v[20:21]
	s_nop 0
	v_addc_co_u32_e32 v1, vcc, 0, v1, vcc
	global_store_dwordx2 v[0:1], v[2:3], off offset:88
	v_pk_add_f32 v[2:3], v[6:7], v[228:229]
	v_mov_b32_e32 v75, v77
	v_pk_add_f32 v[2:3], v[2:3], v[234:235]
	v_mov_b32_e32 v79, v81
	;; [unrolled: 2-line block ×7, first 2 shown]
	v_pk_add_f32 v[2:3], v[2:3], v[90:91]
	global_store_dwordx2 v[0:1], v[2:3], off offset:1040
	v_pk_add_f32 v[2:3], v[6:7], v[38:39]
	v_mov_b32_e32 v47, v45
	v_pk_add_f32 v[2:3], v[2:3], v[42:43]
	v_mov_b32_e32 v51, v49
	;; [unrolled: 2-line block ×7, first 2 shown]
	v_mov_b32_e32 v123, v125
	v_pk_add_f32 v[2:3], v[2:3], v[162:163]
	v_mov_b32_e32 v61, v59
	v_mov_b32_e32 v203, v201
	;; [unrolled: 1-line block ×3, first 2 shown]
	v_pk_add_f32 v[164:165], v[6:7], v[164:165]
	v_mov_b32_e32 v127, v129
	v_pk_add_f32 v[122:123], v[6:7], v[122:123]
	global_store_dwordx2 v[0:1], v[2:3], off offset:1992
	v_pk_add_f32 v[2:3], v[6:7], v[60:61]
	v_mov_b32_e32 v65, v63
	v_pk_add_f32 v[196:197], v[196:197], v[202:203]
	v_mov_b32_e32 v207, v205
	;; [unrolled: 2-line block ×25, first 2 shown]
	v_pk_add_f32 v[196:197], v[196:197], v[226:227]
	v_pk_add_f32 v[164:165], v[164:165], v[194:195]
	;; [unrolled: 1-line block ×4, first 2 shown]
	global_store_dwordx2 v[198:199], v[196:197], off offset:376
	global_store_dwordx2 v[198:199], v[164:165], off offset:1328
	;; [unrolled: 1-line block ×4, first 2 shown]
.LBB0_21:
	s_endpgm
	.section	.rodata,"a",@progbits
	.p2align	6, 0x0
	.amdhsa_kernel fft_rtc_back_len2023_factors_17_7_17_wgs_119_tpt_119_halfLds_sp_ip_CI_unitstride_sbrr_dirReg
		.amdhsa_group_segment_fixed_size 0
		.amdhsa_private_segment_fixed_size 0
		.amdhsa_kernarg_size 88
		.amdhsa_user_sgpr_count 2
		.amdhsa_user_sgpr_dispatch_ptr 0
		.amdhsa_user_sgpr_queue_ptr 0
		.amdhsa_user_sgpr_kernarg_segment_ptr 1
		.amdhsa_user_sgpr_dispatch_id 0
		.amdhsa_user_sgpr_kernarg_preload_length 0
		.amdhsa_user_sgpr_kernarg_preload_offset 0
		.amdhsa_user_sgpr_private_segment_size 0
		.amdhsa_uses_dynamic_stack 0
		.amdhsa_enable_private_segment 0
		.amdhsa_system_sgpr_workgroup_id_x 1
		.amdhsa_system_sgpr_workgroup_id_y 0
		.amdhsa_system_sgpr_workgroup_id_z 0
		.amdhsa_system_sgpr_workgroup_info 0
		.amdhsa_system_vgpr_workitem_id 0
		.amdhsa_next_free_vgpr 240
		.amdhsa_next_free_sgpr 88
		.amdhsa_accum_offset 240
		.amdhsa_reserve_vcc 1
		.amdhsa_float_round_mode_32 0
		.amdhsa_float_round_mode_16_64 0
		.amdhsa_float_denorm_mode_32 3
		.amdhsa_float_denorm_mode_16_64 3
		.amdhsa_dx10_clamp 1
		.amdhsa_ieee_mode 1
		.amdhsa_fp16_overflow 0
		.amdhsa_tg_split 0
		.amdhsa_exception_fp_ieee_invalid_op 0
		.amdhsa_exception_fp_denorm_src 0
		.amdhsa_exception_fp_ieee_div_zero 0
		.amdhsa_exception_fp_ieee_overflow 0
		.amdhsa_exception_fp_ieee_underflow 0
		.amdhsa_exception_fp_ieee_inexact 0
		.amdhsa_exception_int_div_zero 0
	.end_amdhsa_kernel
	.text
.Lfunc_end0:
	.size	fft_rtc_back_len2023_factors_17_7_17_wgs_119_tpt_119_halfLds_sp_ip_CI_unitstride_sbrr_dirReg, .Lfunc_end0-fft_rtc_back_len2023_factors_17_7_17_wgs_119_tpt_119_halfLds_sp_ip_CI_unitstride_sbrr_dirReg
                                        ; -- End function
	.section	.AMDGPU.csdata,"",@progbits
; Kernel info:
; codeLenInByte = 13648
; NumSgprs: 94
; NumVgprs: 240
; NumAgprs: 0
; TotalNumVgprs: 240
; ScratchSize: 0
; MemoryBound: 0
; FloatMode: 240
; IeeeMode: 1
; LDSByteSize: 0 bytes/workgroup (compile time only)
; SGPRBlocks: 11
; VGPRBlocks: 29
; NumSGPRsForWavesPerEU: 94
; NumVGPRsForWavesPerEU: 240
; AccumOffset: 240
; Occupancy: 2
; WaveLimiterHint : 1
; COMPUTE_PGM_RSRC2:SCRATCH_EN: 0
; COMPUTE_PGM_RSRC2:USER_SGPR: 2
; COMPUTE_PGM_RSRC2:TRAP_HANDLER: 0
; COMPUTE_PGM_RSRC2:TGID_X_EN: 1
; COMPUTE_PGM_RSRC2:TGID_Y_EN: 0
; COMPUTE_PGM_RSRC2:TGID_Z_EN: 0
; COMPUTE_PGM_RSRC2:TIDIG_COMP_CNT: 0
; COMPUTE_PGM_RSRC3_GFX90A:ACCUM_OFFSET: 59
; COMPUTE_PGM_RSRC3_GFX90A:TG_SPLIT: 0
	.text
	.p2alignl 6, 3212836864
	.fill 256, 4, 3212836864
	.type	__hip_cuid_73bd8bdffd07bb00,@object ; @__hip_cuid_73bd8bdffd07bb00
	.section	.bss,"aw",@nobits
	.globl	__hip_cuid_73bd8bdffd07bb00
__hip_cuid_73bd8bdffd07bb00:
	.byte	0                               ; 0x0
	.size	__hip_cuid_73bd8bdffd07bb00, 1

	.ident	"AMD clang version 19.0.0git (https://github.com/RadeonOpenCompute/llvm-project roc-6.4.0 25133 c7fe45cf4b819c5991fe208aaa96edf142730f1d)"
	.section	".note.GNU-stack","",@progbits
	.addrsig
	.addrsig_sym __hip_cuid_73bd8bdffd07bb00
	.amdgpu_metadata
---
amdhsa.kernels:
  - .agpr_count:     0
    .args:
      - .actual_access:  read_only
        .address_space:  global
        .offset:         0
        .size:           8
        .value_kind:     global_buffer
      - .offset:         8
        .size:           8
        .value_kind:     by_value
      - .actual_access:  read_only
        .address_space:  global
        .offset:         16
        .size:           8
        .value_kind:     global_buffer
      - .actual_access:  read_only
        .address_space:  global
        .offset:         24
        .size:           8
        .value_kind:     global_buffer
      - .offset:         32
        .size:           8
        .value_kind:     by_value
      - .actual_access:  read_only
        .address_space:  global
        .offset:         40
        .size:           8
        .value_kind:     global_buffer
      - .actual_access:  read_only
        .address_space:  global
        .offset:         48
        .size:           8
        .value_kind:     global_buffer
      - .offset:         56
        .size:           4
        .value_kind:     by_value
      - .actual_access:  read_only
        .address_space:  global
        .offset:         64
        .size:           8
        .value_kind:     global_buffer
      - .actual_access:  read_only
        .address_space:  global
        .offset:         72
        .size:           8
        .value_kind:     global_buffer
      - .address_space:  global
        .offset:         80
        .size:           8
        .value_kind:     global_buffer
    .group_segment_fixed_size: 0
    .kernarg_segment_align: 8
    .kernarg_segment_size: 88
    .language:       OpenCL C
    .language_version:
      - 2
      - 0
    .max_flat_workgroup_size: 119
    .name:           fft_rtc_back_len2023_factors_17_7_17_wgs_119_tpt_119_halfLds_sp_ip_CI_unitstride_sbrr_dirReg
    .private_segment_fixed_size: 0
    .sgpr_count:     94
    .sgpr_spill_count: 0
    .symbol:         fft_rtc_back_len2023_factors_17_7_17_wgs_119_tpt_119_halfLds_sp_ip_CI_unitstride_sbrr_dirReg.kd
    .uniform_work_group_size: 1
    .uses_dynamic_stack: false
    .vgpr_count:     240
    .vgpr_spill_count: 0
    .wavefront_size: 64
amdhsa.target:   amdgcn-amd-amdhsa--gfx950
amdhsa.version:
  - 1
  - 2
...

	.end_amdgpu_metadata
